;; amdgpu-corpus repo=ROCm/rocFFT kind=compiled arch=gfx1201 opt=O3
	.text
	.amdgcn_target "amdgcn-amd-amdhsa--gfx1201"
	.amdhsa_code_object_version 6
	.protected	bluestein_single_back_len1980_dim1_sp_op_CI_CI ; -- Begin function bluestein_single_back_len1980_dim1_sp_op_CI_CI
	.globl	bluestein_single_back_len1980_dim1_sp_op_CI_CI
	.p2align	8
	.type	bluestein_single_back_len1980_dim1_sp_op_CI_CI,@function
bluestein_single_back_len1980_dim1_sp_op_CI_CI: ; @bluestein_single_back_len1980_dim1_sp_op_CI_CI
; %bb.0:
	s_load_b128 s[8:11], s[0:1], 0x28
	v_mul_u32_u24_e32 v1, 0x14b, v0
	s_mov_b32 s2, exec_lo
	v_mov_b32_e32 v61, 0
	s_delay_alu instid0(VALU_DEP_2) | instskip(NEXT) | instid1(VALU_DEP_1)
	v_lshrrev_b32_e32 v1, 16, v1
	v_add_nc_u32_e32 v60, ttmp9, v1
	s_wait_kmcnt 0x0
	s_delay_alu instid0(VALU_DEP_1)
	v_cmpx_gt_u64_e64 s[8:9], v[60:61]
	s_cbranch_execz .LBB0_31
; %bb.1:
	s_clause 0x1
	s_load_b64 s[12:13], s[0:1], 0x0
	s_load_b64 s[8:9], s[0:1], 0x38
	v_mul_lo_u16 v1, 0xc6, v1
	s_delay_alu instid0(VALU_DEP_1) | instskip(NEXT) | instid1(VALU_DEP_1)
	v_sub_nc_u16 v0, v0, v1
	v_and_b32_e32 v87, 0xffff, v0
	v_cmp_gt_u16_e32 vcc_lo, 0xb4, v0
	s_delay_alu instid0(VALU_DEP_2)
	v_lshlrev_b32_e32 v88, 3, v87
	s_and_saveexec_b32 s3, vcc_lo
	s_cbranch_execz .LBB0_3
; %bb.2:
	s_load_b64 s[4:5], s[0:1], 0x18
	s_delay_alu instid0(VALU_DEP_1)
	v_add_nc_u32_e32 v46, 0xa00, v88
	v_add_nc_u32_e32 v48, 0x2000, v88
	s_wait_kmcnt 0x0
	s_load_b128 s[4:7], s[4:5], 0x0
	s_wait_kmcnt 0x0
	v_mad_co_u64_u32 v[0:1], null, s6, v60, 0
	v_mad_co_u64_u32 v[2:3], null, s4, v87, 0
	s_delay_alu instid0(VALU_DEP_1) | instskip(NEXT) | instid1(VALU_DEP_1)
	v_mad_co_u64_u32 v[4:5], null, s7, v60, v[1:2]
	v_mad_co_u64_u32 v[5:6], null, s5, v87, v[3:4]
	v_mov_b32_e32 v1, v4
	s_mul_u64 s[4:5], s[4:5], 0x5a0
	s_delay_alu instid0(VALU_DEP_1) | instskip(NEXT) | instid1(VALU_DEP_3)
	v_lshlrev_b64_e32 v[0:1], 3, v[0:1]
	v_mov_b32_e32 v3, v5
	s_delay_alu instid0(VALU_DEP_2) | instskip(NEXT) | instid1(VALU_DEP_2)
	v_add_co_u32 v10, s2, s10, v0
	v_lshlrev_b64_e32 v[2:3], 3, v[2:3]
	s_delay_alu instid0(VALU_DEP_4)
	v_add_co_ci_u32_e64 v11, s2, s11, v1, s2
	s_clause 0x8
	global_load_b64 v[0:1], v88, s[12:13]
	global_load_b64 v[4:5], v88, s[12:13] offset:1440
	global_load_b64 v[6:7], v88, s[12:13] offset:2880
	;; [unrolled: 1-line block ×8, first 2 shown]
	v_add_co_u32 v2, s2, v10, v2
	s_wait_alu 0xf1ff
	v_add_co_ci_u32_e64 v3, s2, v11, v3, s2
	s_wait_alu 0xfffe
	s_delay_alu instid0(VALU_DEP_2) | instskip(SKIP_1) | instid1(VALU_DEP_2)
	v_add_co_u32 v10, s2, v2, s4
	s_wait_alu 0xf1ff
	v_add_co_ci_u32_e64 v11, s2, s5, v3, s2
	s_delay_alu instid0(VALU_DEP_2) | instskip(SKIP_1) | instid1(VALU_DEP_2)
	v_add_co_u32 v20, s2, v10, s4
	s_wait_alu 0xf1ff
	v_add_co_ci_u32_e64 v21, s2, s5, v11, s2
	s_clause 0x1
	global_load_b64 v[2:3], v[2:3], off
	global_load_b64 v[10:11], v[10:11], off
	v_add_co_u32 v24, s2, v20, s4
	s_wait_alu 0xf1ff
	v_add_co_ci_u32_e64 v25, s2, s5, v21, s2
	v_add_nc_u32_e32 v47, 0x1600, v88
	s_delay_alu instid0(VALU_DEP_3) | instskip(SKIP_1) | instid1(VALU_DEP_3)
	v_add_co_u32 v26, s2, v24, s4
	s_wait_alu 0xf1ff
	v_add_co_ci_u32_e64 v27, s2, s5, v25, s2
	s_clause 0x1
	global_load_b64 v[20:21], v[20:21], off
	global_load_b64 v[24:25], v[24:25], off
	v_add_co_u32 v28, s2, v26, s4
	s_wait_alu 0xf1ff
	v_add_co_ci_u32_e64 v29, s2, s5, v27, s2
	global_load_b64 v[26:27], v[26:27], off
	v_add_co_u32 v30, s2, v28, s4
	s_wait_alu 0xf1ff
	v_add_co_ci_u32_e64 v31, s2, s5, v29, s2
	;; [unrolled: 4-line block ×6, first 2 shown]
	global_load_b64 v[36:37], v[36:37], off
	s_clause 0x1
	global_load_b64 v[40:41], v88, s[12:13] offset:12960
	global_load_b64 v[42:43], v88, s[12:13] offset:14400
	global_load_b64 v[38:39], v[38:39], off
	s_wait_loadcnt 0xc
	v_dual_mul_f32 v44, v3, v1 :: v_dual_add_nc_u32 v49, 0x2c00, v88
	v_mul_f32_e32 v45, v2, v1
	s_wait_loadcnt 0xb
	v_mul_f32_e32 v1, v11, v5
	v_mul_f32_e32 v5, v10, v5
	v_fmac_f32_e32 v44, v2, v0
	v_fma_f32 v45, v3, v0, -v45
	s_delay_alu instid0(VALU_DEP_3) | instskip(SKIP_4) | instid1(VALU_DEP_2)
	v_fma_f32 v2, v11, v4, -v5
	s_wait_loadcnt 0xa
	v_dual_mul_f32 v0, v21, v7 :: v_dual_fmac_f32 v1, v10, v4
	s_wait_loadcnt 0x9
	v_dual_mul_f32 v4, v20, v7 :: v_dual_mul_f32 v3, v25, v9
	v_fmac_f32_e32 v0, v20, v6
	ds_store_2addr_b64 v88, v[44:45], v[1:2] offset1:180
	v_mul_f32_e32 v2, v24, v9
	v_fma_f32 v1, v21, v6, -v4
	s_wait_loadcnt 0x8
	v_mul_f32_e32 v5, v27, v13
	s_wait_loadcnt 0x7
	v_dual_mul_f32 v6, v26, v13 :: v_dual_mul_f32 v7, v29, v15
	v_fma_f32 v4, v25, v8, -v2
	v_mul_f32_e32 v2, v28, v15
	v_fmac_f32_e32 v3, v24, v8
	v_fmac_f32_e32 v5, v26, v12
	v_fma_f32 v6, v27, v12, -v6
	s_wait_loadcnt 0x6
	v_mul_f32_e32 v9, v31, v17
	v_fma_f32 v8, v29, v14, -v2
	v_dual_mul_f32 v2, v30, v17 :: v_dual_fmac_f32 v7, v28, v14
	s_wait_loadcnt 0x5
	v_mul_f32_e32 v11, v33, v19
	v_mul_f32_e32 v12, v32, v19
	s_delay_alu instid0(VALU_DEP_3)
	v_fma_f32 v10, v31, v16, -v2
	s_wait_loadcnt 0x4
	v_mul_f32_e32 v2, v34, v23
	v_mul_f32_e32 v13, v35, v23
	v_fmac_f32_e32 v11, v32, v18
	v_fma_f32 v12, v33, v18, -v12
	s_wait_loadcnt 0x0
	v_dual_mul_f32 v15, v37, v41 :: v_dual_mul_f32 v18, v38, v43
	v_dual_fmac_f32 v9, v30, v16 :: v_dual_mul_f32 v16, v36, v41
	v_mul_f32_e32 v17, v39, v43
	v_fmac_f32_e32 v13, v34, v22
	v_fma_f32 v14, v35, v22, -v2
	v_fmac_f32_e32 v15, v36, v40
	v_fma_f32 v16, v37, v40, -v16
	;; [unrolled: 2-line block ×3, first 2 shown]
	ds_store_2addr_b64 v46, v[0:1], v[3:4] offset0:40 offset1:220
	ds_store_2addr_b64 v47, v[5:6], v[7:8] offset0:16 offset1:196
	;; [unrolled: 1-line block ×4, first 2 shown]
	ds_store_b64 v88, v[17:18] offset:14400
.LBB0_3:
	s_or_b32 exec_lo, exec_lo, s3
	s_clause 0x1
	s_load_b64 s[4:5], s[0:1], 0x20
	s_load_b64 s[2:3], s[0:1], 0x8
	v_mov_b32_e32 v0, 0
	v_mov_b32_e32 v1, 0
                                        ; kill: def $vgpr2 killed $sgpr0 killed $exec
	global_wb scope:SCOPE_SE
	s_wait_dscnt 0x0
	s_wait_kmcnt 0x0
	s_barrier_signal -1
	s_barrier_wait -1
	global_inv scope:SCOPE_SE
                                        ; implicit-def: $vgpr10
                                        ; implicit-def: $vgpr6
                                        ; implicit-def: $vgpr20
                                        ; implicit-def: $vgpr14
                                        ; implicit-def: $vgpr18
	s_and_saveexec_b32 s0, vcc_lo
	s_cbranch_execz .LBB0_5
; %bb.4:
	v_add_nc_u32_e32 v4, 0xa00, v88
	v_add_nc_u32_e32 v5, 0x1600, v88
	;; [unrolled: 1-line block ×4, first 2 shown]
	ds_load_2addr_b64 v[0:3], v88 offset1:180
	ds_load_2addr_b64 v[16:19], v4 offset0:40 offset1:220
	ds_load_2addr_b64 v[12:15], v5 offset0:16 offset1:196
	;; [unrolled: 1-line block ×4, first 2 shown]
	ds_load_b64 v[20:21], v88 offset:14400
.LBB0_5:
	s_wait_alu 0xfffe
	s_or_b32 exec_lo, exec_lo, s0
	s_wait_dscnt 0x0
	v_dual_sub_f32 v44, v3, v21 :: v_dual_sub_f32 v49, v2, v20
	v_add_f32_e32 v22, v20, v2
	v_dual_add_f32 v24, v21, v3 :: v_dual_add_f32 v23, v6, v16
	s_delay_alu instid0(VALU_DEP_3) | instskip(NEXT) | instid1(VALU_DEP_4)
	v_dual_mul_f32 v34, 0xbf0a6770, v44 :: v_dual_sub_f32 v45, v17, v7
	v_dual_mul_f32 v41, 0xbf0a6770, v49 :: v_dual_sub_f32 v50, v16, v6
	v_dual_sub_f32 v46, v15, v9 :: v_dual_sub_f32 v53, v14, v8
	s_delay_alu instid0(VALU_DEP_3) | instskip(NEXT) | instid1(VALU_DEP_3)
	v_dual_fmamk_f32 v26, v22, 0x3f575c64, v34 :: v_dual_add_f32 v25, v7, v17
	v_fma_f32 v27, 0x3f575c64, v24, -v41
	s_delay_alu instid0(VALU_DEP_4) | instskip(NEXT) | instid1(VALU_DEP_3)
	v_dual_mul_f32 v35, 0xbf68dda4, v45 :: v_dual_mul_f32 v38, 0xbf68dda4, v50
	v_dual_add_f32 v28, v26, v0 :: v_dual_sub_f32 v47, v19, v5
	s_delay_alu instid0(VALU_DEP_3) | instskip(NEXT) | instid1(VALU_DEP_3)
	v_add_f32_e32 v29, v27, v1
	v_dual_fmamk_f32 v30, v23, 0x3ed4b147, v35 :: v_dual_sub_f32 v51, v18, v4
	s_delay_alu instid0(VALU_DEP_4) | instskip(SKIP_2) | instid1(VALU_DEP_4)
	v_fma_f32 v31, 0x3ed4b147, v25, -v38
	v_dual_add_f32 v26, v4, v18 :: v_dual_add_f32 v27, v5, v19
	v_mul_f32_e32 v36, 0xbf7d64f0, v47
	v_dual_mul_f32 v39, 0xbf7d64f0, v51 :: v_dual_add_f32 v28, v30, v28
	s_delay_alu instid0(VALU_DEP_4) | instskip(NEXT) | instid1(VALU_DEP_3)
	v_dual_add_f32 v29, v31, v29 :: v_dual_sub_f32 v48, v13, v11
	v_dual_fmamk_f32 v31, v26, 0xbe11bafb, v36 :: v_dual_sub_f32 v52, v12, v10
	s_delay_alu instid0(VALU_DEP_3) | instskip(SKIP_1) | instid1(VALU_DEP_4)
	v_fma_f32 v32, 0xbe11bafb, v27, -v39
	v_add_f32_e32 v30, v10, v12
	v_mul_f32_e32 v37, 0xbf4178ce, v48
	s_delay_alu instid0(VALU_DEP_4)
	v_add_f32_e32 v28, v31, v28
	v_add_f32_e32 v31, v11, v13
	v_dual_add_f32 v29, v32, v29 :: v_dual_mul_f32 v42, 0xbf4178ce, v52
	v_dual_add_f32 v33, v9, v15 :: v_dual_add_f32 v32, v8, v14
	v_mul_f32_e32 v43, 0xbe903f40, v53
	v_mul_lo_u16 v90, v87, 11
	s_delay_alu instid0(VALU_DEP_4)
	v_fma_f32 v55, 0xbf27a4f4, v31, -v42
	v_fmamk_f32 v54, v30, 0xbf27a4f4, v37
	global_wb scope:SCOPE_SE
	s_barrier_signal -1
	s_barrier_wait -1
	v_add_f32_e32 v29, v55, v29
	v_fma_f32 v55, 0xbf75a155, v33, -v43
	v_mul_f32_e32 v40, 0xbe903f40, v46
	v_add_f32_e32 v28, v54, v28
	global_inv scope:SCOPE_SE
	v_dual_add_f32 v29, v55, v29 :: v_dual_fmamk_f32 v54, v32, 0xbf75a155, v40
	s_delay_alu instid0(VALU_DEP_1)
	v_add_f32_e32 v28, v54, v28
	s_and_saveexec_b32 s0, vcc_lo
	s_cbranch_execz .LBB0_7
; %bb.6:
	v_mul_f32_e32 v71, 0xbf7d64f0, v44
	v_mul_f32_e32 v77, 0xbf0a6770, v48
	;; [unrolled: 1-line block ×5, first 2 shown]
	v_dual_fmamk_f32 v57, v22, 0xbe11bafb, v71 :: v_dual_mul_f32 v84, 0xbe11bafb, v33
	s_delay_alu instid0(VALU_DEP_4) | instskip(SKIP_1) | instid1(VALU_DEP_3)
	v_fmamk_f32 v78, v50, 0xbf0a6770, v76
	v_mul_f32_e32 v73, 0x3e903f40, v45
	v_dual_mul_f32 v62, 0xbf75a155, v25 :: v_dual_add_f32 v57, v57, v0
	s_delay_alu instid0(VALU_DEP_4) | instskip(SKIP_1) | instid1(VALU_DEP_4)
	v_fmamk_f32 v86, v53, 0x3f7d64f0, v84
	v_fmamk_f32 v56, v51, 0xbf68dda4, v68
	;; [unrolled: 1-line block ×5, first 2 shown]
	v_mul_f32_e32 v70, 0x3f575c64, v31
	s_delay_alu instid0(VALU_DEP_4) | instskip(NEXT) | instid1(VALU_DEP_4)
	v_dual_mul_f32 v80, 0xbe903f40, v44 :: v_dual_add_f32 v57, v58, v57
	v_dual_add_f32 v54, v54, v1 :: v_dual_mul_f32 v69, 0xbe11bafb, v27
	v_mul_f32_e32 v74, 0xbf27a4f4, v33
	v_mul_f32_e32 v75, 0x3f68dda4, v47
	;; [unrolled: 1-line block ×3, first 2 shown]
	s_delay_alu instid0(VALU_DEP_4) | instskip(SKIP_1) | instid1(VALU_DEP_4)
	v_dual_add_f32 v54, v55, v54 :: v_dual_fmamk_f32 v55, v52, 0x3f0a6770, v70
	v_dual_mul_f32 v72, 0xbf27a4f4, v30 :: v_dual_mul_f32 v79, 0xbf27a4f4, v27
	v_fmamk_f32 v58, v26, 0x3ed4b147, v75
	s_delay_alu instid0(VALU_DEP_3) | instskip(SKIP_4) | instid1(VALU_DEP_4)
	v_add_f32_e32 v54, v56, v54
	v_mul_f32_e32 v56, 0xbf75a155, v24
	v_fmamk_f32 v83, v32, 0xbf27a4f4, v81
	v_mul_f32_e32 v67, 0xbe11bafb, v26
	v_fmac_f32_e32 v62, 0x3e903f40, v50
	v_dual_add_f32 v54, v55, v54 :: v_dual_fmamk_f32 v59, v49, 0x3e903f40, v56
	v_fmamk_f32 v55, v53, 0x3f4178ce, v74
	v_fmac_f32_e32 v84, 0xbf7d64f0, v53
	v_mul_f32_e32 v82, 0x3f0a6770, v45
	v_fmac_f32_e32 v61, 0xbf7d64f0, v49
	v_add_f32_e32 v59, v59, v1
	v_dual_add_f32 v55, v55, v54 :: v_dual_add_f32 v54, v58, v57
	v_fmamk_f32 v57, v30, 0x3f575c64, v77
	v_fmac_f32_e32 v76, 0x3f0a6770, v50
	s_delay_alu instid0(VALU_DEP_4) | instskip(NEXT) | instid1(VALU_DEP_3)
	v_dual_add_f32 v58, v78, v59 :: v_dual_fmamk_f32 v59, v51, 0x3f4178ce, v79
	v_dual_fmac_f32 v79, 0xbf4178ce, v51 :: v_dual_add_f32 v54, v57, v54
	v_fma_f32 v71, 0xbe11bafb, v22, -v71
	v_dual_mul_f32 v63, 0x3f575c64, v22 :: v_dual_mul_f32 v64, 0x3f575c64, v24
	s_delay_alu instid0(VALU_DEP_4)
	v_add_f32_e32 v57, v59, v58
	v_fmamk_f32 v59, v22, 0xbf75a155, v80
	v_fmac_f32_e32 v56, 0xbe903f40, v49
	v_dual_mul_f32 v94, 0x3f68dda4, v46 :: v_dual_add_f32 v3, v3, v1
	v_fmac_f32_e32 v70, 0xbf0a6770, v52
	v_fmac_f32_e32 v74, 0xbf4178ce, v53
	s_delay_alu instid0(VALU_DEP_4)
	v_add_f32_e32 v56, v56, v1
	v_add_f32_e32 v61, v61, v1
	v_mul_f32_e32 v93, 0x3f68dda4, v53
	v_add_f32_e32 v3, v17, v3
	v_dual_mul_f32 v65, 0x3ed4b147, v23 :: v_dual_mul_f32 v66, 0x3ed4b147, v25
	v_add_f32_e32 v56, v76, v56
	v_mul_f32_e32 v78, 0x3ed4b147, v31
	v_fma_f32 v76, 0x3f575c64, v23, -v82
	v_mul_f32_e32 v96, 0xbf27a4f4, v31
	s_delay_alu instid0(VALU_DEP_4) | instskip(NEXT) | instid1(VALU_DEP_4)
	v_dual_add_f32 v38, v38, v66 :: v_dual_add_f32 v79, v79, v56
	v_fmamk_f32 v58, v52, 0xbf68dda4, v78
	v_fmac_f32_e32 v78, 0x3f68dda4, v52
	v_mul_f32_e32 v91, 0xbf0a6770, v47
	v_add_f32_e32 v41, v41, v64
	v_mul_f32_e32 v53, 0x3f0a6770, v53
	v_dual_add_f32 v57, v58, v57 :: v_dual_add_f32 v58, v59, v0
	v_fmamk_f32 v59, v23, 0x3f575c64, v82
	v_dual_mul_f32 v82, 0x3f7d64f0, v50 :: v_dual_add_f32 v3, v19, v3
	s_delay_alu instid0(VALU_DEP_2) | instskip(SKIP_4) | instid1(VALU_DEP_4)
	v_dual_add_f32 v41, v41, v1 :: v_dual_add_f32 v58, v59, v58
	v_dual_mul_f32 v85, 0xbf4178ce, v47 :: v_dual_add_f32 v54, v83, v54
	v_mul_f32_e32 v83, 0x3f68dda4, v48
	v_mul_f32_e32 v47, 0x3e903f40, v47
	v_add_f32_e32 v95, v62, v61
	v_fmamk_f32 v59, v26, 0xbf27a4f4, v85
	v_dual_add_f32 v3, v13, v3 :: v_dual_add_f32 v38, v38, v41
	s_delay_alu instid0(VALU_DEP_2) | instskip(SKIP_1) | instid1(VALU_DEP_3)
	v_add_f32_e32 v58, v59, v58
	v_fma_f32 v59, 0xbf75a155, v22, -v80
	v_dual_fmamk_f32 v80, v30, 0x3ed4b147, v83 :: v_dual_add_f32 v3, v15, v3
	s_delay_alu instid0(VALU_DEP_1) | instskip(NEXT) | instid1(VALU_DEP_2)
	v_dual_add_f32 v59, v59, v0 :: v_dual_add_f32 v58, v80, v58
	v_add_f32_e32 v9, v9, v3
	s_delay_alu instid0(VALU_DEP_2) | instskip(SKIP_3) | instid1(VALU_DEP_3)
	v_add_f32_e32 v59, v76, v59
	v_fma_f32 v76, 0xbf27a4f4, v26, -v85
	v_mul_f32_e32 v85, 0x3f7d64f0, v45
	v_dual_add_f32 v57, v86, v57 :: v_dual_mul_f32 v86, 0xbf7d64f0, v46
	v_dual_add_f32 v9, v11, v9 :: v_dual_add_f32 v76, v76, v59
	s_delay_alu instid0(VALU_DEP_3) | instskip(NEXT) | instid1(VALU_DEP_3)
	v_fma_f32 v89, 0xbe11bafb, v23, -v85
	v_dual_fmac_f32 v85, 0xbe11bafb, v23 :: v_dual_fmamk_f32 v80, v32, 0xbe11bafb, v86
	s_delay_alu instid0(VALU_DEP_1)
	v_dual_add_f32 v5, v5, v9 :: v_dual_add_f32 v56, v80, v58
	v_mul_f32_e32 v80, 0xbf4178ce, v49
	v_add_f32_e32 v58, v78, v79
	v_fma_f32 v78, 0x3ed4b147, v30, -v83
	v_mul_f32_e32 v83, 0xbf4178ce, v44
	v_add_f32_e32 v5, v7, v5
	s_delay_alu instid0(VALU_DEP_3)
	v_dual_add_f32 v59, v84, v58 :: v_dual_add_f32 v58, v78, v76
	v_fmamk_f32 v78, v25, 0xbe11bafb, v82
	v_fmamk_f32 v79, v24, 0xbf27a4f4, v80
	v_fma_f32 v84, 0xbf27a4f4, v22, -v83
	v_fmac_f32_e32 v83, 0xbf27a4f4, v22
	v_add_f32_e32 v5, v21, v5
	s_delay_alu instid0(VALU_DEP_4) | instskip(NEXT) | instid1(VALU_DEP_4)
	v_dual_add_f32 v76, v79, v1 :: v_dual_mul_f32 v79, 0xbf0a6770, v51
	v_add_f32_e32 v84, v84, v0
	s_delay_alu instid0(VALU_DEP_2) | instskip(NEXT) | instid1(VALU_DEP_3)
	v_add_f32_e32 v76, v78, v76
	v_fmamk_f32 v78, v27, 0x3f575c64, v79
	s_delay_alu instid0(VALU_DEP_1) | instskip(NEXT) | instid1(VALU_DEP_4)
	v_add_f32_e32 v76, v78, v76
	v_add_f32_e32 v78, v89, v84
	v_fma_f32 v84, 0x3f575c64, v26, -v91
	v_mul_f32_e32 v89, 0xbe903f40, v48
	v_dual_add_f32 v2, v2, v0 :: v_dual_fmac_f32 v91, 0x3f575c64, v26
	v_mul_f32_e32 v48, 0x3f7d64f0, v48
	s_delay_alu instid0(VALU_DEP_4) | instskip(NEXT) | instid1(VALU_DEP_4)
	v_add_f32_e32 v78, v84, v78
	v_fma_f32 v84, 0xbf75a155, v30, -v89
	v_fmac_f32_e32 v89, 0xbf75a155, v30
	v_add_f32_e32 v2, v16, v2
	v_add_f32_e32 v16, v39, v69
	v_fmac_f32_e32 v68, 0x3f68dda4, v51
	v_add_f32_e32 v78, v84, v78
	v_fma_f32 v84, 0x3ed4b147, v32, -v94
	v_add_f32_e32 v2, v18, v2
	v_add_f32_e32 v13, v16, v38
	;; [unrolled: 1-line block ×3, first 2 shown]
	v_mul_f32_e32 v51, 0x3e903f40, v51
	v_dual_add_f32 v61, v84, v78 :: v_dual_mul_f32 v78, 0xbf75a155, v33
	v_dual_mul_f32 v84, 0xbf68dda4, v49 :: v_dual_add_f32 v49, v71, v0
	v_fma_f32 v71, 0xbf75a155, v23, -v73
	v_fma_f32 v86, 0xbe11bafb, v32, -v86
	s_delay_alu instid0(VALU_DEP_4) | instskip(NEXT) | instid1(VALU_DEP_3)
	v_dual_add_f32 v68, v70, v68 :: v_dual_add_f32 v15, v43, v78
	v_dual_fmamk_f32 v70, v24, 0x3ed4b147, v84 :: v_dual_add_f32 v49, v71, v49
	v_fma_f32 v71, 0x3ed4b147, v26, -v75
	s_delay_alu instid0(VALU_DEP_4) | instskip(SKIP_2) | instid1(VALU_DEP_4)
	v_add_f32_e32 v58, v86, v58
	v_fma_f32 v75, 0xbf27a4f4, v32, -v81
	v_dual_mul_f32 v73, 0xbf4178ce, v50 :: v_dual_add_f32 v50, v74, v68
	v_add_f32_e32 v49, v71, v49
	v_fma_f32 v71, 0x3f575c64, v30, -v77
	v_add_f32_e32 v68, v70, v1
	s_delay_alu instid0(VALU_DEP_4) | instskip(SKIP_1) | instid1(VALU_DEP_4)
	v_fmamk_f32 v70, v25, 0xbf27a4f4, v73
	v_mul_f32_e32 v74, 0xbf68dda4, v44
	v_dual_add_f32 v2, v12, v2 :: v_dual_add_f32 v49, v71, v49
	v_mul_f32_e32 v86, 0xbe903f40, v52
	s_delay_alu instid0(VALU_DEP_4)
	v_add_f32_e32 v44, v70, v68
	v_mul_f32_e32 v52, 0x3f7d64f0, v52
	v_fma_f32 v70, 0x3ed4b147, v22, -v74
	v_add_f32_e32 v49, v75, v49
	v_fmamk_f32 v92, v31, 0xbf75a155, v86
	v_dual_mul_f32 v71, 0xbf4178ce, v45 :: v_dual_add_f32 v2, v14, v2
	v_sub_f32_e32 v14, v67, v36
	v_fmamk_f32 v68, v27, 0xbf75a155, v51
	s_delay_alu instid0(VALU_DEP_4) | instskip(SKIP_2) | instid1(VALU_DEP_4)
	v_dual_add_f32 v76, v92, v76 :: v_dual_fmamk_f32 v45, v31, 0xbe11bafb, v52
	v_fma_f32 v64, 0xbe11bafb, v30, -v48
	v_add_f32_e32 v2, v8, v2
	v_add_f32_e32 v44, v68, v44
	;; [unrolled: 1-line block ×3, first 2 shown]
	v_fma_f32 v70, 0xbf27a4f4, v23, -v71
	v_fmac_f32_e32 v71, 0xbf27a4f4, v23
	v_fma_f32 v8, 0xbf27a4f4, v24, -v80
	v_add_f32_e32 v44, v45, v44
	s_delay_alu instid0(VALU_DEP_4) | instskip(SKIP_2) | instid1(VALU_DEP_3)
	v_dual_fmamk_f32 v45, v33, 0x3f575c64, v53 :: v_dual_add_f32 v68, v70, v68
	v_fma_f32 v70, 0xbf75a155, v26, -v47
	v_add_f32_e32 v2, v10, v2
	v_dual_add_f32 v8, v8, v1 :: v_dual_add_f32 v45, v45, v44
	v_fma_f32 v9, 0xbe11bafb, v25, -v82
	s_delay_alu instid0(VALU_DEP_4) | instskip(SKIP_2) | instid1(VALU_DEP_4)
	v_add_f32_e32 v44, v70, v68
	v_fmamk_f32 v92, v33, 0x3ed4b147, v93
	v_mul_f32_e32 v46, 0x3f0a6770, v46
	v_dual_add_f32 v4, v4, v2 :: v_dual_add_f32 v7, v9, v8
	s_delay_alu instid0(VALU_DEP_4) | instskip(NEXT) | instid1(VALU_DEP_4)
	v_add_f32_e32 v17, v64, v44
	v_add_f32_e32 v62, v92, v76
	v_fma_f32 v8, 0x3f575c64, v27, -v79
	s_delay_alu instid0(VALU_DEP_4)
	v_add_f32_e32 v4, v6, v4
	v_fma_f32 v9, 0x3ed4b147, v24, -v84
	v_fma_f32 v44, 0x3f575c64, v32, -v46
	v_fmac_f32_e32 v74, 0x3ed4b147, v22
	v_add_f32_e32 v6, v8, v7
	v_fma_f32 v7, 0xbf75a155, v31, -v86
	v_dual_add_f32 v8, v83, v0 :: v_dual_add_f32 v1, v9, v1
	v_fmac_f32_e32 v47, 0xbf75a155, v26
	v_fma_f32 v9, 0x3ed4b147, v33, -v93
	s_delay_alu instid0(VALU_DEP_3) | instskip(SKIP_3) | instid1(VALU_DEP_4)
	v_dual_add_f32 v6, v7, v6 :: v_dual_add_f32 v7, v85, v8
	v_fma_f32 v8, 0xbf27a4f4, v25, -v73
	v_fmac_f32_e32 v94, 0x3ed4b147, v32
	v_fmac_f32_e32 v46, 0x3f575c64, v32
	v_dual_add_f32 v4, v20, v4 :: v_dual_add_f32 v7, v91, v7
	s_delay_alu instid0(VALU_DEP_4) | instskip(SKIP_2) | instid1(VALU_DEP_4)
	v_add_f32_e32 v1, v8, v1
	v_fma_f32 v8, 0xbf75a155, v27, -v51
	v_sub_f32_e32 v12, v65, v35
	v_dual_fmac_f32 v48, 0xbe11bafb, v30 :: v_dual_add_f32 v7, v89, v7
	s_delay_alu instid0(VALU_DEP_3) | instskip(SKIP_1) | instid1(VALU_DEP_1)
	v_add_f32_e32 v1, v8, v1
	v_fma_f32 v8, 0xbe11bafb, v31, -v52
	v_add_f32_e32 v8, v8, v1
	v_dual_add_f32 v44, v44, v17 :: v_dual_sub_f32 v17, v63, v34
	v_add_f32_e32 v16, v42, v96
	v_dual_mul_f32 v76, 0xbf75a155, v32 :: v_dual_add_f32 v1, v9, v6
	s_delay_alu instid0(VALU_DEP_3) | instskip(NEXT) | instid1(VALU_DEP_3)
	v_add_f32_e32 v17, v17, v0
	v_dual_add_f32 v13, v16, v13 :: v_dual_add_f32 v0, v74, v0
	s_delay_alu instid0(VALU_DEP_2) | instskip(NEXT) | instid1(VALU_DEP_2)
	v_add_f32_e32 v12, v12, v17
	v_add_f32_e32 v3, v15, v13
	s_delay_alu instid0(VALU_DEP_3) | instskip(NEXT) | instid1(VALU_DEP_3)
	v_add_f32_e32 v0, v71, v0
	v_dual_add_f32 v11, v14, v12 :: v_dual_sub_f32 v12, v72, v37
	s_delay_alu instid0(VALU_DEP_2) | instskip(NEXT) | instid1(VALU_DEP_2)
	v_add_f32_e32 v0, v47, v0
	v_add_f32_e32 v10, v12, v11
	v_sub_f32_e32 v11, v76, v40
	s_delay_alu instid0(VALU_DEP_3) | instskip(SKIP_1) | instid1(VALU_DEP_3)
	v_add_f32_e32 v12, v48, v0
	v_add_f32_e32 v0, v94, v7
	;; [unrolled: 1-line block ×3, first 2 shown]
	v_and_b32_e32 v10, 0xffff, v90
	v_fma_f32 v11, 0x3f575c64, v33, -v53
	v_add_f32_e32 v6, v46, v12
	s_delay_alu instid0(VALU_DEP_2)
	v_dual_add_f32 v7, v11, v8 :: v_dual_lshlrev_b32 v10, 3, v10
	ds_store_2addr_b64 v10, v[4:5], v[2:3] offset1:1
	ds_store_2addr_b64 v10, v[44:45], v[49:50] offset0:2 offset1:3
	ds_store_2addr_b64 v10, v[61:62], v[58:59] offset0:4 offset1:5
	;; [unrolled: 1-line block ×4, first 2 shown]
	ds_store_b64 v10, v[28:29] offset:80
.LBB0_7:
	s_wait_alu 0xfffe
	s_or_b32 exec_lo, exec_lo, s0
	v_and_b32_e32 v0, 0xff, v87
	v_add_co_u32 v1, null, 0x318, v87
	v_add_co_u32 v56, null, 0xc6, v87
	s_delay_alu instid0(VALU_DEP_3) | instskip(NEXT) | instid1(VALU_DEP_3)
	v_mul_lo_u16 v0, 0x75, v0
	v_and_b32_e32 v2, 0xffff, v1
	v_add_co_u32 v57, null, 0x18c, v87
	v_add_nc_u16 v58, v87, 0x252
	s_delay_alu instid0(VALU_DEP_4) | instskip(NEXT) | instid1(VALU_DEP_4)
	v_lshrrev_b16 v0, 8, v0
	v_mul_u32_u24_e32 v2, 0xba2f, v2
	v_and_b32_e32 v72, 0xffff, v56
	s_load_b128 s[4:7], s[4:5], 0x0
	global_wb scope:SCOPE_SE
	s_wait_dscnt 0x0
	v_sub_nc_u16 v3, v87, v0
	v_lshrrev_b32_e32 v23, 19, v2
	s_wait_kmcnt 0x0
	s_barrier_signal -1
	s_barrier_wait -1
	global_inv scope:SCOPE_SE
	v_lshrrev_b16 v2, 1, v3
	v_mul_lo_u16 v3, v23, 11
	v_cmp_gt_u16_e64 s0, 0x42, v87
                                        ; implicit-def: $vgpr36
	s_delay_alu instid0(VALU_DEP_3) | instskip(NEXT) | instid1(VALU_DEP_3)
	v_and_b32_e32 v2, 0x7f, v2
	v_sub_nc_u16 v24, v1, v3
	s_delay_alu instid0(VALU_DEP_2) | instskip(NEXT) | instid1(VALU_DEP_2)
	v_add_nc_u16 v1, v2, v0
	v_and_b32_e32 v3, 0xffff, v24
	v_mul_u32_u24_e32 v0, 0xba2f, v72
	v_mad_u16 v23, v23, 22, v24
	s_delay_alu instid0(VALU_DEP_4) | instskip(NEXT) | instid1(VALU_DEP_4)
	v_lshrrev_b16 v25, 3, v1
	v_lshlrev_b32_e32 v3, 3, v3
	s_delay_alu instid0(VALU_DEP_4) | instskip(NEXT) | instid1(VALU_DEP_4)
	v_lshrrev_b32_e32 v19, 19, v0
	v_and_b32_e32 v23, 0xffff, v23
	s_delay_alu instid0(VALU_DEP_4)
	v_mul_lo_u16 v4, v25, 11
	global_load_b64 v[61:62], v3, s[2:3]
	v_and_b32_e32 v71, 0xffff, v57
	v_and_b32_e32 v59, 0xffff, v58
	v_mul_lo_u16 v5, v19, 11
	v_sub_nc_u16 v3, v87, v4
	v_and_b32_e32 v25, 0xffff, v25
	v_mul_u32_u24_e32 v2, 0xba2f, v71
	v_mul_u32_u24_e32 v1, 0xba2f, v59
	v_sub_nc_u16 v22, v56, v5
	v_and_b32_e32 v27, 0xff, v3
	v_mul_u32_u24_e32 v25, 22, v25
	v_lshrrev_b32_e32 v20, 19, v2
	v_lshrrev_b32_e32 v21, 19, v1
	v_and_b32_e32 v3, 0xffff, v22
	v_lshlrev_b32_e32 v5, 3, v27
	v_mad_u16 v34, v19, 22, v22
	v_mul_lo_u16 v6, v20, 11
	v_mul_lo_u16 v4, v21, 11
	v_lshlrev_b32_e32 v3, 3, v3
	global_load_b64 v[67:68], v5, s[2:3]
	v_and_b32_e32 v24, 0xffff, v34
	v_sub_nc_u16 v26, v57, v6
	v_sub_nc_u16 v30, v58, v4
	v_lshlrev_b32_e32 v93, 3, v23
	s_delay_alu instid0(VALU_DEP_4) | instskip(NEXT) | instid1(VALU_DEP_4)
	v_lshlrev_b32_e32 v96, 3, v24
	v_and_b32_e32 v4, 0xffff, v26
	s_delay_alu instid0(VALU_DEP_4) | instskip(SKIP_2) | instid1(VALU_DEP_4)
	v_and_b32_e32 v6, 0xffff, v30
	v_mad_u16 v26, v20, 22, v26
	v_mad_u16 v30, v21, 22, v30
	v_lshlrev_b32_e32 v4, 3, v4
	s_delay_alu instid0(VALU_DEP_4)
	v_lshlrev_b32_e32 v5, 3, v6
	s_clause 0x2
	global_load_b64 v[69:70], v3, s[2:3]
	global_load_b64 v[65:66], v4, s[2:3]
	;; [unrolled: 1-line block ×3, first 2 shown]
	v_and_b32_e32 v3, 0xffff, v87
	v_and_b32_e32 v26, 0xffff, v26
	;; [unrolled: 1-line block ×3, first 2 shown]
	s_delay_alu instid0(VALU_DEP_3) | instskip(NEXT) | instid1(VALU_DEP_3)
	v_lshlrev_b32_e32 v89, 3, v3
	v_lshlrev_b32_e32 v95, 3, v26
	s_delay_alu instid0(VALU_DEP_3) | instskip(NEXT) | instid1(VALU_DEP_3)
	v_lshlrev_b32_e32 v94, 3, v30
	v_add_nc_u32_e32 v3, 0x3000, v89
	v_add_nc_u32_e32 v11, 0x1800, v89
	ds_load_2addr_b64 v[3:6], v3 offset0:48 offset1:246
	ds_load_2addr_b64 v[7:10], v89 offset1:198
	v_add_nc_u32_e32 v15, 0x2400, v89
	ds_load_2addr_b64 v[11:14], v11 offset0:24 offset1:222
	ds_load_2addr_b64 v[15:18], v15 offset0:36 offset1:234
	s_wait_loadcnt_dscnt 0x403
	v_mul_f32_e32 v24, v6, v62
	v_mul_f32_e32 v26, v5, v62
	s_delay_alu instid0(VALU_DEP_2) | instskip(NEXT) | instid1(VALU_DEP_2)
	v_fma_f32 v5, v5, v61, -v24
	v_fmac_f32_e32 v26, v6, v61
	s_wait_dscnt 0x1
	s_delay_alu instid0(VALU_DEP_1) | instskip(NEXT) | instid1(VALU_DEP_1)
	v_dual_sub_f32 v44, v11, v5 :: v_dual_sub_f32 v45, v12, v26
	v_fma_f32 v5, v11, 2.0, -v44
	s_wait_loadcnt 0x3
	v_mul_f32_e32 v11, v13, v68
	v_mul_f32_e32 v6, v14, v68
	v_add_lshl_u32 v97, v25, v27, 3
	s_delay_alu instid0(VALU_DEP_3) | instskip(NEXT) | instid1(VALU_DEP_3)
	v_fmac_f32_e32 v11, v14, v67
	v_fma_f32 v6, v13, v67, -v6
	s_wait_loadcnt_dscnt 0x200
	v_mul_f32_e32 v24, v15, v70
	s_wait_loadcnt 0x0
	v_dual_mul_f32 v23, v16, v70 :: v_dual_mul_f32 v30, v3, v64
	v_mul_f32_e32 v25, v18, v66
	v_mul_f32_e32 v26, v17, v66
	v_fmac_f32_e32 v24, v16, v69
	v_mul_f32_e32 v27, v4, v64
	v_fmac_f32_e32 v30, v4, v63
	v_sub_f32_e32 v4, v8, v11
	v_fma_f32 v13, v15, v69, -v23
	v_dual_sub_f32 v14, v10, v24 :: v_dual_add_nc_u32 v31, 0xc00, v89
	v_fma_f32 v15, v17, v65, -v25
	v_fmac_f32_e32 v26, v18, v65
	v_fma_f32 v17, v3, v63, -v27
	v_dual_sub_f32 v3, v7, v6 :: v_dual_add_nc_u32 v32, 0x1400, v89
	ds_load_2addr_b64 v[19:22], v31 offset0:12 offset1:210
	v_sub_f32_e32 v13, v9, v13
	v_fma_f32 v8, v8, 2.0, -v4
	v_fma_f32 v10, v10, 2.0, -v14
	;; [unrolled: 1-line block ×3, first 2 shown]
	v_add_nc_u32_e32 v33, 0x2800, v89
	v_fma_f32 v9, v9, 2.0, -v13
	v_fma_f32 v6, v12, 2.0, -v45
	global_wb scope:SCOPE_SE
	s_wait_dscnt 0x0
	s_barrier_signal -1
	s_barrier_wait -1
	global_inv scope:SCOPE_SE
	v_dual_sub_f32 v15, v19, v15 :: v_dual_sub_f32 v16, v20, v26
	v_dual_sub_f32 v17, v21, v17 :: v_dual_sub_f32 v18, v22, v30
	s_delay_alu instid0(VALU_DEP_2) | instskip(NEXT) | instid1(VALU_DEP_3)
	v_fma_f32 v19, v19, 2.0, -v15
	v_fma_f32 v20, v20, 2.0, -v16
	s_delay_alu instid0(VALU_DEP_3) | instskip(NEXT) | instid1(VALU_DEP_4)
	v_fma_f32 v21, v21, 2.0, -v17
	v_fma_f32 v22, v22, 2.0, -v18
	ds_store_2addr_b64 v97, v[7:8], v[3:4] offset1:11
	ds_store_2addr_b64 v96, v[9:10], v[13:14] offset1:11
	;; [unrolled: 1-line block ×5, first 2 shown]
	global_wb scope:SCOPE_SE
	s_wait_dscnt 0x0
	s_barrier_signal -1
	s_barrier_wait -1
	global_inv scope:SCOPE_SE
	ds_load_2addr_b64 v[8:11], v89 offset1:198
	ds_load_2addr_b64 v[24:27], v32 offset0:20 offset1:218
	ds_load_2addr_b64 v[20:23], v33 offset0:40 offset1:238
	ds_load_b64 v[30:31], v89 offset:3168
	ds_load_b64 v[34:35], v89 offset:8448
	;; [unrolled: 1-line block ×3, first 2 shown]
	s_and_saveexec_b32 s1, s0
	s_cbranch_execz .LBB0_9
; %bb.8:
	ds_load_b64 v[44:45], v89 offset:4752
	ds_load_b64 v[28:29], v89 offset:10032
	;; [unrolled: 1-line block ×3, first 2 shown]
.LBB0_9:
	s_wait_alu 0xfffe
	s_or_b32 exec_lo, exec_lo, s1
	v_lshrrev_b32_e32 v38, 20, v2
	v_lshrrev_b16 v2, 1, v87
	v_lshrrev_b32_e32 v91, 20, v1
	v_lshrrev_b32_e32 v40, 20, v0
	s_delay_alu instid0(VALU_DEP_4) | instskip(NEXT) | instid1(VALU_DEP_4)
	v_mul_lo_u16 v1, v38, 22
	v_and_b32_e32 v2, 0x7f, v2
	s_delay_alu instid0(VALU_DEP_4) | instskip(NEXT) | instid1(VALU_DEP_3)
	v_mul_lo_u16 v3, v91, 22
	v_sub_nc_u16 v39, v57, v1
	s_delay_alu instid0(VALU_DEP_3) | instskip(NEXT) | instid1(VALU_DEP_3)
	v_mul_lo_u16 v0, 0xbb, v2
	v_sub_nc_u16 v92, v58, v3
	v_mul_lo_u16 v2, v40, 22
	s_delay_alu instid0(VALU_DEP_4) | instskip(NEXT) | instid1(VALU_DEP_4)
	v_lshlrev_b16 v1, 4, v39
	v_lshrrev_b16 v41, 11, v0
	s_delay_alu instid0(VALU_DEP_4) | instskip(NEXT) | instid1(VALU_DEP_4)
	v_lshlrev_b16 v0, 4, v92
	v_sub_nc_u16 v42, v56, v2
	v_mad_u16 v38, 0x42, v38, v39
	v_and_b32_e32 v1, 0xffff, v1
	v_mul_lo_u16 v12, v41, 22
	v_and_b32_e32 v2, 0xffff, v0
	v_and_b32_e32 v39, 0xffff, v41
	v_lshlrev_b16 v13, 4, v42
	v_add_co_u32 v0, s1, s2, v1
	s_wait_alu 0xf1ff
	v_add_co_ci_u32_e64 v1, null, s3, 0, s1
	v_sub_nc_u16 v12, v87, v12
	v_mad_u16 v40, 0x42, v40, v42
	global_load_b128 v[4:7], v[0:1], off offset:88
	v_and_b32_e32 v38, 0xffff, v38
	v_and_b32_e32 v43, 0xff, v12
	s_wait_loadcnt_dscnt 0x0
	v_mul_f32_e32 v41, v32, v7
	v_add_co_u32 v2, s1, s2, v2
	s_wait_alu 0xf1ff
	v_add_co_ci_u32_e64 v3, null, s3, 0, s1
	s_delay_alu instid0(VALU_DEP_3)
	v_dual_fmac_f32 v41, v33, v6 :: v_dual_and_b32 v40, 0xffff, v40
	global_load_b128 v[0:3], v[2:3], off offset:88
	v_and_b32_e32 v12, 0xffff, v13
	v_lshlrev_b32_e32 v98, 3, v38
	v_mul_f32_e32 v38, v35, v5
	v_lshlrev_b32_e32 v14, 4, v43
	v_dual_mul_f32 v40, v33, v7 :: v_dual_lshlrev_b32 v99, 3, v40
	s_delay_alu instid0(VALU_DEP_1)
	v_fma_f32 v32, v32, v6, -v40
	s_wait_loadcnt 0x0
	v_dual_mul_f32 v42, v29, v1 :: v_dual_mul_f32 v47, v36, v3
	v_add_co_u32 v12, s1, s2, v12
	v_mul_f32_e32 v46, v37, v3
	v_mul_u32_u24_e32 v39, 0x42, v39
	s_wait_alu 0xf1ff
	v_add_co_ci_u32_e64 v13, null, s3, 0, s1
	s_delay_alu instid0(VALU_DEP_2)
	v_add_lshl_u32 v100, v39, v43, 3
	v_mul_f32_e32 v43, v28, v1
	s_clause 0x1
	global_load_b128 v[16:19], v14, s[2:3] offset:88
	global_load_b128 v[12:15], v[12:13], off offset:88
	v_mul_f32_e32 v39, v34, v5
	v_fma_f32 v34, v34, v4, -v38
	v_fma_f32 v28, v28, v0, -v42
	v_fmac_f32_e32 v43, v29, v0
	v_fma_f32 v29, v36, v2, -v46
	v_fmac_f32_e32 v39, v35, v4
	v_fmac_f32_e32 v47, v37, v2
	v_add_f32_e32 v46, v30, v34
	v_add_f32_e32 v48, v34, v32
	v_dual_add_f32 v52, v44, v28 :: v_dual_add_f32 v55, v45, v43
	v_dual_add_f32 v51, v31, v39 :: v_dual_sub_f32 v34, v34, v32
	v_add_f32_e32 v53, v28, v29
	global_wb scope:SCOPE_SE
	s_wait_loadcnt 0x0
	s_barrier_signal -1
	s_barrier_wait -1
	global_inv scope:SCOPE_SE
	v_sub_f32_e32 v49, v39, v41
	v_add_f32_e32 v39, v39, v41
	v_sub_f32_e32 v73, v28, v29
	v_fma_f32 v30, -0.5, v48, v30
	s_delay_alu instid0(VALU_DEP_3)
	v_fmac_f32_e32 v31, -0.5, v39
	v_dual_mul_f32 v33, v25, v17 :: v_dual_mul_f32 v42, v23, v15
	v_dual_mul_f32 v35, v24, v17 :: v_dual_mul_f32 v36, v21, v19
	;; [unrolled: 1-line block ×3, first 2 shown]
	v_mul_f32_e32 v38, v27, v13
	v_mul_f32_e32 v50, v22, v15
	v_sub_f32_e32 v54, v43, v47
	v_add_f32_e32 v43, v43, v47
	v_fma_f32 v24, v24, v16, -v33
	s_delay_alu instid0(VALU_DEP_4)
	v_dual_fmac_f32 v35, v25, v16 :: v_dual_fmac_f32 v50, v23, v14
	v_fma_f32 v25, v20, v18, -v36
	v_dual_fmac_f32 v37, v21, v18 :: v_dual_fmac_f32 v40, v27, v12
	v_fma_f32 v26, v26, v12, -v38
	v_fma_f32 v27, v22, v14, -v42
	v_add_f32_e32 v20, v46, v32
	v_dual_add_f32 v46, v52, v29 :: v_dual_fmac_f32 v45, -0.5, v43
	v_sub_f32_e32 v32, v35, v37
	v_dual_add_f32 v29, v24, v25 :: v_dual_add_f32 v38, v10, v26
	v_dual_add_f32 v33, v9, v35 :: v_dual_sub_f32 v36, v24, v25
	v_add_f32_e32 v35, v35, v37
	v_dual_add_f32 v21, v51, v41 :: v_dual_add_f32 v28, v8, v24
	v_dual_add_f32 v39, v26, v27 :: v_dual_add_f32 v42, v11, v40
	v_dual_sub_f32 v41, v40, v50 :: v_dual_fmamk_f32 v22, v49, 0x3f5db3d7, v30
	v_add_f32_e32 v40, v40, v50
	v_dual_fmac_f32 v44, -0.5, v53 :: v_dual_add_f32 v47, v55, v47
	v_fma_f32 v8, -0.5, v29, v8
	v_fma_f32 v9, -0.5, v35, v9
	v_dual_sub_f32 v43, v26, v27 :: v_dual_fmac_f32 v30, 0xbf5db3d7, v49
	v_fma_f32 v10, -0.5, v39, v10
	v_fmac_f32_e32 v11, -0.5, v40
	v_fmamk_f32 v23, v34, 0xbf5db3d7, v31
	v_dual_fmac_f32 v31, 0x3f5db3d7, v34 :: v_dual_fmamk_f32 v48, v54, 0x3f5db3d7, v44
	v_dual_fmac_f32 v44, 0xbf5db3d7, v54 :: v_dual_fmamk_f32 v49, v73, 0xbf5db3d7, v45
	v_add_f32_e32 v24, v28, v25
	v_dual_add_f32 v25, v33, v37 :: v_dual_add_f32 v26, v38, v27
	v_dual_add_f32 v27, v42, v50 :: v_dual_fmamk_f32 v28, v32, 0x3f5db3d7, v8
	v_dual_fmac_f32 v8, 0xbf5db3d7, v32 :: v_dual_fmamk_f32 v29, v36, 0xbf5db3d7, v9
	v_fmac_f32_e32 v45, 0x3f5db3d7, v73
	v_dual_fmac_f32 v9, 0x3f5db3d7, v36 :: v_dual_fmamk_f32 v32, v41, 0x3f5db3d7, v10
	v_dual_fmac_f32 v10, 0xbf5db3d7, v41 :: v_dual_fmamk_f32 v33, v43, 0xbf5db3d7, v11
	v_fmac_f32_e32 v11, 0x3f5db3d7, v43
	ds_store_2addr_b64 v100, v[24:25], v[28:29] offset1:22
	ds_store_b64 v100, v[8:9] offset:352
	ds_store_2addr_b64 v99, v[26:27], v[32:33] offset1:22
	ds_store_b64 v99, v[10:11] offset:352
	;; [unrolled: 2-line block ×3, first 2 shown]
	s_and_saveexec_b32 s1, s0
	s_cbranch_execz .LBB0_11
; %bb.10:
	v_mad_u16 v8, 0x42, v91, v92
	s_delay_alu instid0(VALU_DEP_1) | instskip(NEXT) | instid1(VALU_DEP_1)
	v_and_b32_e32 v8, 0xffff, v8
	v_lshlrev_b32_e32 v8, 3, v8
	ds_store_2addr_b64 v8, v[46:47], v[48:49] offset1:22
	ds_store_b64 v8, v[44:45] offset:352
.LBB0_11:
	s_wait_alu 0xfffe
	s_or_b32 exec_lo, exec_lo, s1
	v_add_nc_u32_e32 v8, 0x1400, v89
	v_add_nc_u32_e32 v9, 0x2800, v89
	global_wb scope:SCOPE_SE
	s_wait_dscnt 0x0
	s_barrier_signal -1
	s_barrier_wait -1
	global_inv scope:SCOPE_SE
	ds_load_2addr_b64 v[20:23], v89 offset1:198
	ds_load_2addr_b64 v[40:43], v8 offset0:20 offset1:218
	ds_load_2addr_b64 v[36:39], v9 offset0:40 offset1:238
	ds_load_b64 v[50:51], v89 offset:3168
	ds_load_b64 v[54:55], v89 offset:8448
	ds_load_b64 v[52:53], v89 offset:13728
	s_and_saveexec_b32 s1, s0
	s_cbranch_execz .LBB0_13
; %bb.12:
	ds_load_b64 v[46:47], v89 offset:4752
	ds_load_b64 v[48:49], v89 offset:10032
	;; [unrolled: 1-line block ×3, first 2 shown]
.LBB0_13:
	s_wait_alu 0xfffe
	s_or_b32 exec_lo, exec_lo, s1
	v_and_b32_e32 v8, 0xff, v87
	v_mul_u32_u24_e32 v9, 0xf83f, v72
	v_mul_u32_u24_e32 v11, 0xf83f, v59
	;; [unrolled: 1-line block ×3, first 2 shown]
	s_delay_alu instid0(VALU_DEP_4) | instskip(NEXT) | instid1(VALU_DEP_4)
	v_mul_lo_u16 v8, 0xf9, v8
	v_lshrrev_b32_e32 v59, 22, v9
	s_delay_alu instid0(VALU_DEP_4) | instskip(NEXT) | instid1(VALU_DEP_4)
	v_lshrrev_b32_e32 v9, 22, v11
	v_lshrrev_b32_e32 v71, 22, v10
	s_delay_alu instid0(VALU_DEP_4) | instskip(NEXT) | instid1(VALU_DEP_4)
	v_lshrrev_b16 v72, 14, v8
	v_mul_lo_u16 v8, 0x42, v59
	s_delay_alu instid0(VALU_DEP_4) | instskip(NEXT) | instid1(VALU_DEP_4)
	v_mul_lo_u16 v9, 0x42, v9
	v_mul_lo_u16 v10, 0x42, v71
	s_delay_alu instid0(VALU_DEP_4) | instskip(NEXT) | instid1(VALU_DEP_4)
	v_mul_lo_u16 v11, 0x42, v72
	v_sub_nc_u16 v56, v56, v8
	s_delay_alu instid0(VALU_DEP_4) | instskip(NEXT) | instid1(VALU_DEP_4)
	v_sub_nc_u16 v58, v58, v9
	v_sub_nc_u16 v57, v57, v10
	s_delay_alu instid0(VALU_DEP_4) | instskip(NEXT) | instid1(VALU_DEP_4)
	v_sub_nc_u16 v8, v87, v11
	v_lshlrev_b16 v9, 4, v56
	s_delay_alu instid0(VALU_DEP_4) | instskip(NEXT) | instid1(VALU_DEP_4)
	v_lshlrev_b16 v11, 4, v58
	v_lshlrev_b16 v10, 4, v57
	v_mad_u16 v56, 0xc6, v59, v56
	v_and_b32_e32 v73, 0xff, v8
	v_mad_u16 v57, 0xc6, v71, v57
	v_and_b32_e32 v24, 0xffff, v11
	s_delay_alu instid0(VALU_DEP_3) | instskip(SKIP_2) | instid1(VALU_DEP_1)
	v_lshlrev_b32_e32 v11, 4, v73
	global_load_b128 v[32:35], v11, s[2:3] offset:440
	v_and_b32_e32 v8, 0xffff, v9
	v_add_co_u32 v8, s1, s2, v8
	s_wait_alu 0xf1ff
	v_add_co_ci_u32_e64 v9, null, s3, 0, s1
	global_load_b128 v[28:31], v[8:9], off offset:440
	v_and_b32_e32 v72, 0xffff, v72
	v_and_b32_e32 v10, 0xffff, v10
	;; [unrolled: 1-line block ×4, first 2 shown]
	s_wait_loadcnt_dscnt 0x104
	v_mul_f32_e32 v58, v41, v33
	s_wait_dscnt 0x3
	v_mul_f32_e32 v71, v37, v35
	s_wait_loadcnt 0x0
	v_mul_f32_e32 v76, v38, v31
	v_mul_f32_e32 v75, v39, v31
	v_mul_u32_u24_e32 v59, 0xc6, v72
	v_mul_f32_e32 v72, v36, v35
	v_mul_f32_e32 v74, v42, v29
	s_delay_alu instid0(VALU_DEP_3)
	v_add_lshl_u32 v104, v59, v73, 3
	v_mul_f32_e32 v73, v43, v29
	v_add_co_u32 v10, s1, s2, v10
	s_wait_alu 0xf1ff
	v_add_co_ci_u32_e64 v11, null, s3, 0, s1
	v_add_co_u32 v8, s1, s2, v24
	s_wait_alu 0xf1ff
	v_add_co_ci_u32_e64 v9, null, s3, 0, s1
	s_clause 0x1
	global_load_b128 v[24:27], v[10:11], off offset:440
	global_load_b128 v[8:11], v[8:9], off offset:440
	v_dual_mul_f32 v59, v40, v33 :: v_dual_and_b32 v56, 0xffff, v56
	v_lshlrev_b32_e32 v102, 3, v57
	v_fma_f32 v40, v40, v32, -v58
	v_fmac_f32_e32 v72, v37, v34
	v_fma_f32 v42, v42, v28, -v73
	v_fmac_f32_e32 v59, v41, v32
	;; [unrolled: 2-line block ×3, first 2 shown]
	v_fma_f32 v43, v38, v30, -v75
	v_dual_fmac_f32 v76, v39, v30 :: v_dual_add_f32 v39, v20, v40
	global_wb scope:SCOPE_SE
	s_wait_loadcnt_dscnt 0x0
	s_barrier_signal -1
	v_sub_f32_e32 v71, v42, v43
	s_barrier_wait -1
	global_inv scope:SCOPE_SE
	v_mul_f32_e32 v77, v55, v25
	v_mul_f32_e32 v79, v53, v27
	v_dual_mul_f32 v78, v54, v25 :: v_dual_lshlrev_b32 v103, 3, v56
	v_dual_mul_f32 v80, v52, v27 :: v_dual_mul_f32 v81, v49, v9
	v_dual_mul_f32 v57, v48, v9 :: v_dual_mul_f32 v82, v45, v11
	v_mul_f32_e32 v56, v44, v11
	v_fma_f32 v38, v54, v24, -v77
	v_fma_f32 v52, v52, v26, -v79
	s_delay_alu instid0(VALU_DEP_4)
	v_fmac_f32_e32 v57, v49, v8
	v_fmac_f32_e32 v80, v53, v26
	v_fma_f32 v37, v48, v8, -v81
	v_fma_f32 v36, v44, v10, -v82
	v_dual_fmac_f32 v56, v45, v10 :: v_dual_add_f32 v49, v59, v72
	v_sub_f32_e32 v45, v59, v72
	v_dual_sub_f32 v53, v40, v41 :: v_dual_add_f32 v48, v21, v59
	v_add_f32_e32 v59, v74, v76
	v_fmac_f32_e32 v78, v55, v24
	v_dual_add_f32 v44, v40, v41 :: v_dual_sub_f32 v55, v74, v76
	v_dual_add_f32 v40, v22, v42 :: v_dual_add_f32 v79, v37, v36
	v_dual_add_f32 v58, v23, v74 :: v_dual_add_f32 v73, v38, v52
	v_dual_fmac_f32 v23, -0.5, v59 :: v_dual_add_f32 v82, v57, v56
	v_dual_add_f32 v54, v42, v43 :: v_dual_add_f32 v75, v51, v78
	v_add_f32_e32 v77, v78, v80
	v_dual_add_f32 v42, v50, v38 :: v_dual_sub_f32 v85, v37, v36
	v_sub_f32_e32 v74, v78, v80
	v_fma_f32 v20, -0.5, v44, v20
	v_fma_f32 v21, -0.5, v49, v21
	v_sub_f32_e32 v84, v57, v56
	v_fma_f32 v50, -0.5, v73, v50
	v_fma_f32 v81, -0.5, v79, v46
	v_fmamk_f32 v49, v71, 0xbf5db3d7, v23
	v_fma_f32 v82, -0.5, v82, v47
	v_fma_f32 v22, -0.5, v54, v22
	v_sub_f32_e32 v78, v38, v52
	v_add_f32_e32 v38, v39, v41
	v_fmac_f32_e32 v51, -0.5, v77
	v_dual_add_f32 v39, v48, v72 :: v_dual_fmamk_f32 v44, v45, 0x3f5db3d7, v20
	v_dual_add_f32 v40, v40, v43 :: v_dual_add_f32 v41, v58, v76
	v_dual_add_f32 v42, v42, v52 :: v_dual_fmac_f32 v23, 0x3f5db3d7, v71
	v_dual_add_f32 v43, v75, v80 :: v_dual_fmac_f32 v20, 0xbf5db3d7, v45
	v_fmamk_f32 v45, v53, 0xbf5db3d7, v21
	v_dual_fmac_f32 v21, 0x3f5db3d7, v53 :: v_dual_fmamk_f32 v52, v74, 0x3f5db3d7, v50
	v_fmamk_f32 v83, v84, 0x3f5db3d7, v81
	v_dual_fmac_f32 v50, 0xbf5db3d7, v74 :: v_dual_fmac_f32 v81, 0xbf5db3d7, v84
	v_fmamk_f32 v84, v85, 0xbf5db3d7, v82
	v_fmac_f32_e32 v82, 0x3f5db3d7, v85
	v_fmamk_f32 v48, v55, 0x3f5db3d7, v22
	v_dual_fmac_f32 v22, 0xbf5db3d7, v55 :: v_dual_fmamk_f32 v53, v78, 0xbf5db3d7, v51
	v_fmac_f32_e32 v51, 0x3f5db3d7, v78
	ds_store_2addr_b64 v104, v[38:39], v[44:45] offset1:66
	ds_store_b64 v104, v[20:21] offset:1056
	ds_store_2addr_b64 v103, v[40:41], v[48:49] offset1:66
	ds_store_b64 v103, v[22:23] offset:1056
	;; [unrolled: 2-line block ×3, first 2 shown]
	s_and_saveexec_b32 s1, s0
	s_cbranch_execz .LBB0_15
; %bb.14:
	v_add_f32_e32 v20, v47, v57
	v_add_f32_e32 v22, v46, v37
	v_lshlrev_b32_e32 v23, 3, v101
	s_delay_alu instid0(VALU_DEP_3) | instskip(NEXT) | instid1(VALU_DEP_3)
	v_add_f32_e32 v21, v20, v56
	v_add_f32_e32 v20, v22, v36
	s_delay_alu instid0(VALU_DEP_3)
	v_add_nc_u32_e32 v22, 0x3400, v23
	ds_store_2addr_b64 v22, v[20:21], v[83:84] offset0:118 offset1:184
	ds_store_b64 v23, v[81:82] offset:15312
.LBB0_15:
	s_wait_alu 0xfffe
	s_or_b32 exec_lo, exec_lo, s1
	v_lshlrev_b32_e32 v71, 5, v87
	global_wb scope:SCOPE_SE
	s_wait_dscnt 0x0
	s_barrier_signal -1
	s_barrier_wait -1
	global_inv scope:SCOPE_SE
	s_clause 0x1
	global_load_b128 v[36:39], v71, s[2:3] offset:1496
	global_load_b128 v[20:23], v71, s[2:3] offset:1512
	v_add_nc_u32_e32 v85, 0xc00, v89
	v_add_nc_u32_e32 v86, 0x1800, v89
	;; [unrolled: 1-line block ×4, first 2 shown]
	v_mul_i32_i24_e32 v73, 0xffffffe8, v87
	ds_load_2addr_b64 v[40:43], v85 offset0:12 offset1:210
	ds_load_2addr_b64 v[44:47], v86 offset0:24 offset1:222
	ds_load_2addr_b64 v[48:51], v89 offset1:198
	ds_load_2addr_b64 v[52:55], v114 offset0:36 offset1:234
	ds_load_2addr_b64 v[56:59], v105 offset0:48 offset1:246
	v_add_co_u32 v71, s1, s2, v71
	v_mul_hi_i32_i24_e32 v72, 0xffffffe8, v87
	s_wait_alu 0xf1ff
	v_add_co_ci_u32_e64 v74, null, s3, 0, s1
	s_delay_alu instid0(VALU_DEP_3)
	v_add_co_u32 v77, s1, v71, v73
	global_wb scope:SCOPE_SE
	s_wait_loadcnt_dscnt 0x0
	s_wait_alu 0xf1ff
	v_add_co_ci_u32_e64 v78, s1, v74, v72, s1
	s_barrier_signal -1
	s_barrier_wait -1
	global_inv scope:SCOPE_SE
	v_dual_mul_f32 v71, v41, v37 :: v_dual_mul_f32 v108, v47, v39
	v_dual_mul_f32 v72, v40, v37 :: v_dual_mul_f32 v73, v45, v39
	;; [unrolled: 1-line block ×3, first 2 shown]
	v_mul_f32_e32 v79, v57, v23
	v_mul_f32_e32 v80, v56, v23
	v_dual_mul_f32 v106, v43, v37 :: v_dual_mul_f32 v113, v58, v23
	v_mul_f32_e32 v74, v44, v39
	v_dual_mul_f32 v76, v52, v21 :: v_dual_mul_f32 v109, v46, v39
	v_dual_mul_f32 v107, v42, v37 :: v_dual_fmac_f32 v72, v41, v36
	v_fma_f32 v40, v40, v36, -v71
	v_mul_f32_e32 v110, v55, v21
	v_dual_mul_f32 v111, v54, v21 :: v_dual_fmac_f32 v74, v45, v38
	v_fma_f32 v41, v44, v38, -v73
	v_fma_f32 v52, v52, v20, -v75
	;; [unrolled: 1-line block ×3, first 2 shown]
	v_dual_fmac_f32 v80, v57, v22 :: v_dual_fmac_f32 v107, v43, v36
	v_fma_f32 v42, v42, v36, -v106
	v_dual_fmac_f32 v76, v53, v20 :: v_dual_fmac_f32 v109, v47, v38
	v_fma_f32 v44, v46, v38, -v108
	v_fma_f32 v58, v58, v22, -v112
	v_add_f32_e32 v43, v48, v40
	v_fma_f32 v53, v54, v20, -v110
	v_dual_fmac_f32 v111, v55, v20 :: v_dual_sub_f32 v46, v40, v41
	v_dual_fmac_f32 v113, v59, v22 :: v_dual_add_f32 v54, v40, v56
	v_dual_sub_f32 v57, v72, v80 :: v_dual_add_f32 v116, v50, v42
	v_dual_sub_f32 v47, v56, v52 :: v_dual_add_f32 v122, v42, v58
	v_dual_add_f32 v45, v41, v52 :: v_dual_sub_f32 v108, v72, v74
	s_delay_alu instid0(VALU_DEP_4)
	v_dual_add_f32 v73, v49, v72 :: v_dual_sub_f32 v132, v111, v113
	v_dual_add_f32 v75, v74, v76 :: v_dual_add_f32 v126, v109, v111
	v_dual_sub_f32 v106, v41, v52 :: v_dual_add_f32 v117, v44, v53
	v_dual_add_f32 v112, v72, v80 :: v_dual_sub_f32 v121, v58, v53
	v_dual_sub_f32 v59, v74, v76 :: v_dual_sub_f32 v118, v107, v113
	v_dual_sub_f32 v55, v41, v40 :: v_dual_sub_f32 v128, v44, v53
	;; [unrolled: 1-line block ×6, first 2 shown]
	v_dual_sub_f32 v115, v76, v80 :: v_dual_add_f32 v134, v46, v47
	v_dual_sub_f32 v120, v42, v44 :: v_dual_add_f32 v125, v51, v107
	s_delay_alu instid0(VALU_DEP_2)
	v_dual_sub_f32 v127, v42, v58 :: v_dual_add_f32 v72, v72, v115
	v_sub_f32_e32 v129, v107, v109
	v_fma_f32 v42, -0.5, v54, v48
	v_dual_add_f32 v54, v116, v44 :: v_dual_add_f32 v131, v107, v113
	v_fma_f32 v40, -0.5, v45, v48
	v_add_f32_e32 v133, v43, v41
	s_delay_alu instid0(VALU_DEP_4)
	v_dual_add_f32 v47, v73, v74 :: v_dual_fmamk_f32 v48, v59, 0xbf737871, v42
	v_fma_f32 v41, -0.5, v75, v49
	v_fma_f32 v44, -0.5, v117, v50
	;; [unrolled: 1-line block ×4, first 2 shown]
	v_add_f32_e32 v71, v55, v71
	v_dual_add_f32 v73, v108, v110 :: v_dual_fmac_f32 v42, 0x3f737871, v59
	v_dual_add_f32 v55, v125, v109 :: v_dual_add_f32 v76, v47, v76
	v_fma_f32 v45, -0.5, v126, v51
	v_dual_add_f32 v108, v129, v130 :: v_dual_fmac_f32 v51, -0.5, v131
	v_dual_sub_f32 v107, v109, v107 :: v_dual_add_f32 v74, v120, v121
	v_dual_add_f32 v75, v123, v124 :: v_dual_add_f32 v110, v54, v53
	v_fmamk_f32 v46, v57, 0x3f737871, v40
	v_dual_add_f32 v109, v133, v52 :: v_dual_fmamk_f32 v54, v119, 0xbf737871, v50
	v_dual_fmac_f32 v40, 0xbf737871, v57 :: v_dual_fmamk_f32 v47, v79, 0xbf737871, v41
	v_dual_fmamk_f32 v49, v106, 0x3f737871, v43 :: v_dual_fmac_f32 v50, 0x3f737871, v119
	v_fmac_f32_e32 v43, 0xbf737871, v106
	v_dual_fmac_f32 v41, 0x3f737871, v79 :: v_dual_add_f32 v58, v110, v58
	v_dual_fmamk_f32 v52, v118, 0x3f737871, v44 :: v_dual_add_f32 v111, v55, v111
	v_fmac_f32_e32 v48, 0x3f167918, v57
	v_fmamk_f32 v53, v127, 0xbf737871, v45
	v_fmamk_f32 v55, v128, 0x3f737871, v51
	v_dual_add_f32 v107, v107, v132 :: v_dual_fmac_f32 v44, 0xbf737871, v118
	v_fmac_f32_e32 v45, 0x3f737871, v127
	v_fmac_f32_e32 v51, 0xbf737871, v128
	v_add_f32_e32 v56, v109, v56
	v_fmac_f32_e32 v46, 0x3f167918, v59
	v_dual_fmac_f32 v40, 0xbf167918, v59 :: v_dual_fmac_f32 v47, 0xbf167918, v106
	v_dual_fmac_f32 v42, 0xbf167918, v57 :: v_dual_fmac_f32 v49, 0xbf167918, v79
	;; [unrolled: 1-line block ×5, first 2 shown]
	v_fmac_f32_e32 v55, 0xbf167918, v127
	v_dual_fmac_f32 v44, 0xbf167918, v119 :: v_dual_add_f32 v59, v111, v113
	v_fmac_f32_e32 v45, 0x3f167918, v128
	v_fmac_f32_e32 v51, 0x3f167918, v127
	v_dual_add_f32 v57, v76, v80 :: v_dual_fmac_f32 v46, 0x3e9e377a, v134
	v_dual_fmac_f32 v47, 0x3e9e377a, v73 :: v_dual_fmac_f32 v48, 0x3e9e377a, v71
	v_dual_fmac_f32 v49, 0x3e9e377a, v72 :: v_dual_fmac_f32 v42, 0x3e9e377a, v71
	;; [unrolled: 1-line block ×7, first 2 shown]
	v_fmac_f32_e32 v51, 0x3e9e377a, v107
	ds_store_2addr_b64 v89, v[56:57], v[46:47] offset1:198
	ds_store_2addr_b64 v85, v[48:49], v[42:43] offset0:12 offset1:210
	ds_store_2addr_b64 v86, v[40:41], v[58:59] offset0:24 offset1:222
	;; [unrolled: 1-line block ×4, first 2 shown]
	global_wb scope:SCOPE_SE
	s_wait_dscnt 0x0
	s_barrier_signal -1
	s_barrier_wait -1
	global_inv scope:SCOPE_SE
	s_clause 0x4
	global_load_b64 v[75:76], v[77:78], off offset:7832
	global_load_b64 v[79:80], v[77:78], off offset:9416
	;; [unrolled: 1-line block ×5, first 2 shown]
	ds_load_2addr_b64 v[44:47], v86 offset0:24 offset1:222
	ds_load_2addr_b64 v[40:43], v114 offset0:36 offset1:234
	;; [unrolled: 1-line block ×3, first 2 shown]
	ds_load_2addr_b64 v[106:109], v89 offset1:198
	ds_load_2addr_b64 v[110:113], v85 offset0:12 offset1:210
	s_wait_loadcnt_dscnt 0x404
	v_mul_f32_e32 v53, v46, v76
	v_mul_f32_e32 v52, v47, v76
	s_wait_loadcnt_dscnt 0x303
	v_mul_f32_e32 v54, v41, v80
	s_wait_loadcnt_dscnt 0x102
	v_dual_mul_f32 v58, v49, v74 :: v_dual_mul_f32 v55, v40, v80
	v_dual_mul_f32 v56, v43, v72 :: v_dual_mul_f32 v115, v48, v74
	s_wait_loadcnt 0x0
	v_mul_f32_e32 v59, v51, v78
	v_dual_mul_f32 v116, v50, v78 :: v_dual_fmac_f32 v53, v47, v75
	v_fma_f32 v47, v48, v73, -v58
	v_mul_f32_e32 v57, v42, v72
	v_fma_f32 v46, v46, v75, -v52
	v_fma_f32 v40, v40, v79, -v54
	v_fmac_f32_e32 v55, v41, v79
	v_fma_f32 v41, v42, v71, -v56
	v_fmac_f32_e32 v115, v49, v73
	v_fma_f32 v48, v50, v77, -v59
	s_wait_dscnt 0x0
	v_sub_f32_e32 v50, v112, v47
	v_fmac_f32_e32 v57, v43, v71
	v_fmac_f32_e32 v116, v51, v77
	v_dual_sub_f32 v42, v106, v46 :: v_dual_sub_f32 v43, v107, v53
	v_dual_sub_f32 v58, v108, v40 :: v_dual_sub_f32 v59, v109, v55
	v_sub_f32_e32 v54, v110, v41
	v_sub_f32_e32 v55, v111, v57
	v_dual_sub_f32 v51, v113, v115 :: v_dual_sub_f32 v46, v44, v48
	v_sub_f32_e32 v47, v45, v116
	v_fma_f32 v40, v106, 2.0, -v42
	v_fma_f32 v41, v107, 2.0, -v43
	;; [unrolled: 1-line block ×10, first 2 shown]
	ds_store_2addr_b64 v114, v[58:59], v[54:55] offset0:36 offset1:234
	ds_store_2addr_b64 v105, v[50:51], v[46:47] offset0:48 offset1:246
	ds_store_2addr_b64 v89, v[40:41], v[56:57] offset1:198
	ds_store_2addr_b64 v85, v[52:53], v[48:49] offset0:12 offset1:210
	ds_store_2addr_b64 v86, v[44:45], v[42:43] offset0:24 offset1:222
	global_wb scope:SCOPE_SE
	s_wait_dscnt 0x0
	s_barrier_signal -1
	s_barrier_wait -1
	global_inv scope:SCOPE_SE
	s_and_saveexec_b32 s1, vcc_lo
	s_cbranch_execz .LBB0_17
; %bb.16:
	global_load_b64 v[85:86], v88, s[12:13] offset:15840
	s_add_nc_u64 s[2:3], s[12:13], 0x3de0
	s_clause 0x9
	global_load_b64 v[125:126], v88, s[2:3] offset:1440
	global_load_b64 v[127:128], v88, s[2:3] offset:2880
	;; [unrolled: 1-line block ×10, first 2 shown]
	ds_load_b64 v[105:106], v89
	v_add_nc_u32_e32 v145, 0x400, v88
	v_add_nc_u32_e32 v146, 0x1000, v88
	;; [unrolled: 1-line block ×3, first 2 shown]
	s_wait_loadcnt_dscnt 0xa00
	v_mul_f32_e32 v107, v106, v86
	v_mul_f32_e32 v108, v105, v86
	s_delay_alu instid0(VALU_DEP_2) | instskip(NEXT) | instid1(VALU_DEP_2)
	v_fma_f32 v107, v105, v85, -v107
	v_fmac_f32_e32 v108, v106, v85
	ds_store_b64 v89, v[107:108]
	ds_load_2addr_b64 v[105:108], v145 offset0:52 offset1:232
	v_add_nc_u32_e32 v148, 0x2600, v88
	v_add_nc_u32_e32 v149, 0x3200, v88
	ds_load_2addr_b64 v[109:112], v146 offset0:28 offset1:208
	ds_load_2addr_b64 v[113:116], v147 offset0:4 offset1:184
	s_wait_loadcnt_dscnt 0x902
	v_mul_f32_e32 v86, v105, v126
	v_mul_f32_e32 v85, v106, v126
	ds_load_2addr_b64 v[117:120], v148 offset0:44 offset1:224
	ds_load_2addr_b64 v[121:124], v149 offset0:20 offset1:200
	s_wait_loadcnt_dscnt 0x703
	v_dual_mul_f32 v150, v108, v128 :: v_dual_mul_f32 v151, v110, v130
	s_wait_loadcnt_dscnt 0x502
	v_dual_mul_f32 v126, v107, v128 :: v_dual_mul_f32 v153, v114, v134
	v_mul_f32_e32 v128, v109, v130
	v_mul_f32_e32 v152, v112, v132
	;; [unrolled: 1-line block ×4, first 2 shown]
	s_wait_loadcnt 0x4
	v_mul_f32_e32 v154, v116, v136
	v_mul_f32_e32 v134, v115, v136
	v_fma_f32 v85, v105, v125, -v85
	v_fmac_f32_e32 v86, v106, v125
	v_fma_f32 v125, v107, v127, -v150
	v_fmac_f32_e32 v126, v108, v127
	;; [unrolled: 2-line block ×3, first 2 shown]
	v_fmac_f32_e32 v132, v114, v133
	s_wait_loadcnt_dscnt 0x301
	v_dual_fmac_f32 v134, v116, v135 :: v_dual_mul_f32 v155, v118, v138
	s_wait_loadcnt_dscnt 0x100
	v_mul_f32_e32 v157, v122, v142
	v_mul_f32_e32 v136, v117, v138
	v_mul_f32_e32 v156, v120, v140
	v_mul_f32_e32 v138, v119, v140
	v_mul_f32_e32 v140, v121, v142
	s_wait_loadcnt 0x0
	v_mul_f32_e32 v158, v124, v144
	v_mul_f32_e32 v142, v123, v144
	v_fma_f32 v129, v111, v131, -v152
	v_fmac_f32_e32 v130, v112, v131
	v_fma_f32 v131, v113, v133, -v153
	v_fma_f32 v133, v115, v135, -v154
	;; [unrolled: 1-line block ×3, first 2 shown]
	v_fmac_f32_e32 v136, v118, v137
	v_fma_f32 v137, v119, v139, -v156
	v_fmac_f32_e32 v138, v120, v139
	v_fma_f32 v139, v121, v141, -v157
	;; [unrolled: 2-line block ×3, first 2 shown]
	v_fmac_f32_e32 v142, v124, v143
	ds_store_2addr_b64 v145, v[85:86], v[125:126] offset0:52 offset1:232
	ds_store_2addr_b64 v146, v[127:128], v[129:130] offset0:28 offset1:208
	;; [unrolled: 1-line block ×5, first 2 shown]
.LBB0_17:
	s_wait_alu 0xfffe
	s_or_b32 exec_lo, exec_lo, s1
	global_wb scope:SCOPE_SE
	s_wait_dscnt 0x0
	s_barrier_signal -1
	s_barrier_wait -1
	global_inv scope:SCOPE_SE
	s_and_saveexec_b32 s1, vcc_lo
	s_cbranch_execz .LBB0_19
; %bb.18:
	v_add_nc_u32_e32 v44, 0xa00, v89
	v_add_nc_u32_e32 v45, 0x1600, v89
	;; [unrolled: 1-line block ×4, first 2 shown]
	ds_load_2addr_b64 v[40:43], v89 offset1:180
	ds_load_2addr_b64 v[56:59], v44 offset0:40 offset1:220
	ds_load_2addr_b64 v[52:55], v45 offset0:16 offset1:196
	;; [unrolled: 1-line block ×4, first 2 shown]
	ds_load_b64 v[83:84], v89 offset:14400
.LBB0_19:
	s_wait_alu 0xfffe
	s_or_b32 exec_lo, exec_lo, s1
	s_wait_dscnt 0x0
	v_dual_sub_f32 v125, v43, v84 :: v_dual_add_f32 v130, v84, v43
	v_dual_add_f32 v105, v83, v42 :: v_dual_sub_f32 v108, v42, v83
	v_dual_add_f32 v106, v46, v56 :: v_dual_sub_f32 v107, v56, v46
	s_delay_alu instid0(VALU_DEP_3) | instskip(NEXT) | instid1(VALU_DEP_4)
	v_dual_mul_f32 v115, 0xbf0a6770, v125 :: v_dual_sub_f32 v126, v57, v47
	v_dual_mul_f32 v122, 0x3f575c64, v130 :: v_dual_add_f32 v131, v47, v57
	v_dual_sub_f32 v110, v58, v44 :: v_dual_add_f32 v133, v51, v53
	s_delay_alu instid0(VALU_DEP_3) | instskip(NEXT) | instid1(VALU_DEP_4)
	v_fma_f32 v85, 0x3f575c64, v105, -v115
	v_mul_f32_e32 v116, 0xbf68dda4, v126
	s_delay_alu instid0(VALU_DEP_4) | instskip(NEXT) | instid1(VALU_DEP_3)
	v_dual_mul_f32 v120, 0x3ed4b147, v131 :: v_dual_add_f32 v109, v44, v58
	v_dual_add_f32 v132, v45, v59 :: v_dual_add_f32 v85, v40, v85
	s_delay_alu instid0(VALU_DEP_3) | instskip(SKIP_1) | instid1(VALU_DEP_3)
	v_fma_f32 v111, 0x3ed4b147, v106, -v116
	v_fmamk_f32 v86, v108, 0xbf0a6770, v122
	v_dual_sub_f32 v128, v59, v45 :: v_dual_mul_f32 v121, 0xbe11bafb, v132
	v_dual_fmamk_f32 v112, v107, 0xbf68dda4, v120 :: v_dual_sub_f32 v129, v53, v51
	s_delay_alu instid0(VALU_DEP_3) | instskip(NEXT) | instid1(VALU_DEP_3)
	v_dual_add_f32 v85, v111, v85 :: v_dual_add_f32 v86, v41, v86
	v_mul_f32_e32 v117, 0xbf7d64f0, v128
	s_delay_alu instid0(VALU_DEP_4) | instskip(NEXT) | instid1(VALU_DEP_4)
	v_fmamk_f32 v113, v110, 0xbf7d64f0, v121
	v_dual_add_f32 v111, v50, v52 :: v_dual_mul_f32 v118, 0xbf4178ce, v129
	s_delay_alu instid0(VALU_DEP_4) | instskip(NEXT) | instid1(VALU_DEP_4)
	v_add_f32_e32 v86, v112, v86
	v_fma_f32 v112, 0xbe11bafb, v109, -v117
	v_dual_sub_f32 v127, v55, v49 :: v_dual_add_f32 v134, v49, v55
	s_delay_alu instid0(VALU_DEP_3) | instskip(NEXT) | instid1(VALU_DEP_3)
	v_dual_mul_f32 v123, 0xbf27a4f4, v133 :: v_dual_add_f32 v86, v113, v86
	v_add_f32_e32 v85, v112, v85
	v_sub_f32_e32 v112, v52, v50
	v_add_f32_e32 v113, v48, v54
	v_fma_f32 v135, 0xbf27a4f4, v111, -v118
	v_dual_sub_f32 v114, v54, v48 :: v_dual_mul_f32 v119, 0xbe903f40, v127
	s_delay_alu instid0(VALU_DEP_4)
	v_fmamk_f32 v136, v112, 0xbf4178ce, v123
	global_wb scope:SCOPE_SE
	v_add_f32_e32 v85, v135, v85
	s_barrier_signal -1
	v_fma_f32 v135, 0xbf75a155, v113, -v119
	v_mul_f32_e32 v124, 0xbf75a155, v134
	v_add_f32_e32 v86, v136, v86
	s_barrier_wait -1
	global_inv scope:SCOPE_SE
	v_dual_add_f32 v85, v135, v85 :: v_dual_fmamk_f32 v136, v114, 0xbe903f40, v124
	s_delay_alu instid0(VALU_DEP_1)
	v_add_f32_e32 v86, v136, v86
	s_and_saveexec_b32 s1, vcc_lo
	s_cbranch_execz .LBB0_21
; %bb.20:
	v_mul_f32_e32 v153, 0xbf7d64f0, v125
	v_dual_mul_f32 v141, 0xbf7d64f0, v108 :: v_dual_mul_f32 v148, 0xbf7d64f0, v110
	v_mul_f32_e32 v156, 0x3e903f40, v126
	v_mul_f32_e32 v162, 0xbf4178ce, v110
	s_delay_alu instid0(VALU_DEP_4)
	v_fma_f32 v137, 0xbe11bafb, v105, -v153
	v_mul_f32_e32 v146, 0xbf68dda4, v107
	v_mul_f32_e32 v139, 0xbe903f40, v108
	v_fma_f32 v138, 0xbf75a155, v106, -v156
	v_fmamk_f32 v164, v132, 0xbf27a4f4, v162
	v_fmamk_f32 v135, v130, 0xbe11bafb, v141
	v_dual_add_f32 v137, v40, v137 :: v_dual_mul_f32 v142, 0x3e903f40, v107
	v_mul_f32_e32 v144, 0xbf0a6770, v108
	v_dual_mul_f32 v157, 0xbf4178ce, v114 :: v_dual_mul_f32 v168, 0xbf4178ce, v128
	s_delay_alu instid0(VALU_DEP_4) | instskip(NEXT) | instid1(VALU_DEP_4)
	v_add_f32_e32 v135, v41, v135
	v_dual_add_f32 v137, v138, v137 :: v_dual_fmamk_f32 v136, v131, 0xbf75a155, v142
	v_mul_f32_e32 v150, 0x3f68dda4, v110
	v_mul_f32_e32 v149, 0xbf27a4f4, v111
	;; [unrolled: 1-line block ×3, first 2 shown]
	v_dual_mul_f32 v151, 0xbf4178ce, v112 :: v_dual_mul_f32 v160, 0xbf4178ce, v127
	v_add_f32_e32 v135, v136, v135
	v_dual_mul_f32 v145, 0x3ed4b147, v106 :: v_dual_fmamk_f32 v136, v132, 0x3ed4b147, v150
	v_mul_f32_e32 v152, 0xbf75a155, v113
	v_fma_f32 v141, 0xbe11bafb, v130, -v141
	v_mul_f32_e32 v165, 0x3f68dda4, v112
	v_fma_f32 v142, 0xbf75a155, v131, -v142
	v_dual_add_f32 v135, v136, v135 :: v_dual_mul_f32 v154, 0xbf0a6770, v112
	v_mul_f32_e32 v143, 0x3f575c64, v105
	v_add_f32_e32 v141, v41, v141
	v_fma_f32 v150, 0x3ed4b147, v132, -v150
	v_mul_f32_e32 v170, 0x3f7d64f0, v126
	v_fmamk_f32 v136, v133, 0x3f575c64, v154
	s_delay_alu instid0(VALU_DEP_4) | instskip(SKIP_1) | instid1(VALU_DEP_3)
	v_dual_mul_f32 v172, 0xbf0a6770, v128 :: v_dual_add_f32 v141, v142, v141
	v_add_f32_e32 v42, v42, v40
	v_dual_sub_f32 v122, v122, v144 :: v_dual_add_f32 v135, v136, v135
	v_fmamk_f32 v136, v134, 0xbf27a4f4, v157
	v_mul_f32_e32 v147, 0xbe11bafb, v109
	v_add_f32_e32 v150, v150, v141
	v_fma_f32 v154, 0x3f575c64, v133, -v154
	s_delay_alu instid0(VALU_DEP_4) | instskip(SKIP_2) | instid1(VALU_DEP_4)
	v_dual_mul_f32 v169, 0x3f68dda4, v129 :: v_dual_add_f32 v136, v136, v135
	v_fmamk_f32 v135, v130, 0xbf75a155, v139
	v_mul_f32_e32 v158, 0x3f68dda4, v128
	v_add_f32_e32 v150, v154, v150
	v_mul_f32_e32 v128, 0x3e903f40, v128
	s_delay_alu instid0(VALU_DEP_4) | instskip(NEXT) | instid1(VALU_DEP_4)
	v_dual_add_f32 v42, v56, v42 :: v_dual_add_f32 v135, v41, v135
	v_fma_f32 v138, 0x3ed4b147, v109, -v158
	v_fmac_f32_e32 v158, 0x3ed4b147, v109
	v_add_f32_e32 v122, v41, v122
	v_dual_sub_f32 v120, v120, v146 :: v_dual_mul_f32 v173, 0x3f68dda4, v127
	s_delay_alu instid0(VALU_DEP_4)
	v_add_f32_e32 v137, v138, v137
	v_fma_f32 v138, 0x3f575c64, v111, -v159
	v_mul_f32_e32 v140, 0x3f0a6770, v107
	v_fmac_f32_e32 v156, 0xbf75a155, v106
	v_add_f32_e32 v120, v120, v122
	v_add_f32_e32 v42, v58, v42
	;; [unrolled: 1-line block ×3, first 2 shown]
	v_fmamk_f32 v161, v131, 0x3f575c64, v140
	v_fma_f32 v138, 0xbf27a4f4, v113, -v160
	v_fma_f32 v140, 0x3f575c64, v131, -v140
	v_fmac_f32_e32 v160, 0xbf27a4f4, v113
	v_fmamk_f32 v171, v106, 0xbe11bafb, v170
	v_add_f32_e32 v161, v161, v135
	v_dual_add_f32 v135, v138, v137 :: v_dual_sub_f32 v56, v121, v148
	v_add_f32_e32 v42, v52, v42
	v_add_f32_e32 v52, v145, v116
	s_delay_alu instid0(VALU_DEP_4) | instskip(SKIP_1) | instid1(VALU_DEP_4)
	v_dual_add_f32 v138, v164, v161 :: v_dual_fmamk_f32 v161, v133, 0x3ed4b147, v165
	v_mul_f32_e32 v164, 0xbf7d64f0, v114
	v_dual_fmac_f32 v153, 0xbe11bafb, v105 :: v_dual_add_f32 v42, v54, v42
	v_add_f32_e32 v54, v147, v117
	s_delay_alu instid0(VALU_DEP_4) | instskip(SKIP_3) | instid1(VALU_DEP_3)
	v_add_f32_e32 v138, v161, v138
	v_fma_f32 v139, 0xbf75a155, v130, -v139
	v_fmamk_f32 v161, v134, 0xbe11bafb, v164
	v_fma_f32 v164, 0xbe11bafb, v134, -v164
	v_dual_add_f32 v42, v48, v42 :: v_dual_add_f32 v139, v41, v139
	s_delay_alu instid0(VALU_DEP_3)
	v_add_f32_e32 v138, v161, v138
	v_fma_f32 v161, 0x3ed4b147, v111, -v169
	v_fmac_f32_e32 v169, 0x3ed4b147, v111
	v_fmac_f32_e32 v159, 0x3f575c64, v111
	v_add_f32_e32 v139, v140, v139
	v_fma_f32 v140, 0xbf27a4f4, v132, -v162
	v_add_f32_e32 v42, v50, v42
	v_add_f32_e32 v50, v152, v119
	s_delay_alu instid0(VALU_DEP_3) | instskip(SKIP_1) | instid1(VALU_DEP_4)
	v_add_f32_e32 v139, v140, v139
	v_fma_f32 v140, 0x3ed4b147, v133, -v165
	v_add_f32_e32 v44, v44, v42
	s_delay_alu instid0(VALU_DEP_2) | instskip(NEXT) | instid1(VALU_DEP_2)
	v_add_f32_e32 v139, v140, v139
	v_dual_mul_f32 v163, 0xbe903f40, v125 :: v_dual_add_f32 v44, v46, v44
	s_delay_alu instid0(VALU_DEP_1) | instskip(SKIP_2) | instid1(VALU_DEP_4)
	v_fma_f32 v137, 0xbf75a155, v105, -v163
	v_mul_f32_e32 v166, 0x3f0a6770, v126
	v_fmac_f32_e32 v163, 0xbf75a155, v105
	v_dual_mul_f32 v155, 0xbe903f40, v114 :: v_dual_add_f32 v44, v83, v44
	s_delay_alu instid0(VALU_DEP_4) | instskip(NEXT) | instid1(VALU_DEP_4)
	v_add_f32_e32 v137, v40, v137
	v_fma_f32 v167, 0x3f575c64, v106, -v166
	s_delay_alu instid0(VALU_DEP_4) | instskip(SKIP_2) | instid1(VALU_DEP_4)
	v_add_f32_e32 v162, v40, v163
	v_fmac_f32_e32 v166, 0x3f575c64, v106
	v_mul_f32_e32 v163, 0xbf27a4f4, v130
	v_add_f32_e32 v137, v167, v137
	v_fma_f32 v167, 0xbf27a4f4, v109, -v168
	v_fmac_f32_e32 v168, 0xbf27a4f4, v109
	s_delay_alu instid0(VALU_DEP_2) | instskip(SKIP_1) | instid1(VALU_DEP_2)
	v_dual_fmamk_f32 v140, v108, 0x3f4178ce, v163 :: v_dual_add_f32 v137, v167, v137
	v_mul_f32_e32 v167, 0xbf7d64f0, v127
	v_dual_add_f32 v165, v41, v140 :: v_dual_add_f32 v140, v164, v139
	v_mul_f32_e32 v164, 0xbf4178ce, v125
	s_delay_alu instid0(VALU_DEP_4) | instskip(NEXT) | instid1(VALU_DEP_4)
	v_add_f32_e32 v137, v161, v137
	v_fma_f32 v161, 0xbe11bafb, v113, -v167
	v_mul_f32_e32 v127, 0x3f0a6770, v127
	s_delay_alu instid0(VALU_DEP_2) | instskip(SKIP_1) | instid1(VALU_DEP_1)
	v_add_f32_e32 v137, v161, v137
	v_dual_add_f32 v161, v166, v162 :: v_dual_mul_f32 v162, 0xbe11bafb, v131
	v_dual_add_f32 v161, v168, v161 :: v_dual_fmamk_f32 v166, v107, 0xbf7d64f0, v162
	v_mul_f32_e32 v168, 0x3f575c64, v132
	v_dual_mul_f32 v132, 0xbf75a155, v132 :: v_dual_add_f32 v43, v43, v41
	s_delay_alu instid0(VALU_DEP_3) | instskip(NEXT) | instid1(VALU_DEP_4)
	v_add_f32_e32 v139, v169, v161
	v_add_f32_e32 v161, v166, v165
	s_delay_alu instid0(VALU_DEP_4) | instskip(SKIP_3) | instid1(VALU_DEP_4)
	v_fmamk_f32 v165, v110, 0x3f0a6770, v168
	v_mul_f32_e32 v166, 0xbf75a155, v133
	v_fmamk_f32 v169, v105, 0xbf27a4f4, v164
	v_dual_fmac_f32 v168, 0xbf0a6770, v110 :: v_dual_add_f32 v43, v57, v43
	v_add_f32_e32 v161, v165, v161
	s_delay_alu instid0(VALU_DEP_4) | instskip(NEXT) | instid1(VALU_DEP_4)
	v_fmamk_f32 v165, v112, 0x3e903f40, v166
	v_dual_add_f32 v169, v40, v169 :: v_dual_fmac_f32 v166, 0xbe903f40, v112
	s_delay_alu instid0(VALU_DEP_4) | instskip(SKIP_1) | instid1(VALU_DEP_4)
	v_add_f32_e32 v43, v59, v43
	v_mul_f32_e32 v133, 0xbe11bafb, v133
	v_add_f32_e32 v161, v165, v161
	s_delay_alu instid0(VALU_DEP_4) | instskip(SKIP_4) | instid1(VALU_DEP_3)
	v_add_f32_e32 v165, v171, v169
	v_mul_f32_e32 v171, 0x3ed4b147, v134
	v_add_f32_e32 v43, v53, v43
	v_mul_f32_e32 v169, 0xbe903f40, v129
	v_dual_fmac_f32 v162, 0x3f7d64f0, v107 :: v_dual_mul_f32 v129, 0x3f7d64f0, v129
	v_dual_fmamk_f32 v174, v114, 0xbf68dda4, v171 :: v_dual_add_f32 v43, v55, v43
	v_sub_f32_e32 v55, v124, v155
	v_fmac_f32_e32 v171, 0x3f68dda4, v114
	s_delay_alu instid0(VALU_DEP_4) | instskip(NEXT) | instid1(VALU_DEP_4)
	v_fmamk_f32 v144, v111, 0xbe11bafb, v129
	v_dual_add_f32 v142, v174, v161 :: v_dual_mul_f32 v161, 0x3ed4b147, v130
	v_add_f32_e32 v130, v40, v153
	v_fma_f32 v153, 0xbf27a4f4, v134, -v157
	v_mul_f32_e32 v157, 0xbf27a4f4, v131
	s_delay_alu instid0(VALU_DEP_4) | instskip(NEXT) | instid1(VALU_DEP_4)
	v_dual_add_f32 v49, v49, v43 :: v_dual_fmamk_f32 v154, v108, 0x3f68dda4, v161
	v_add_f32_e32 v130, v156, v130
	s_delay_alu instid0(VALU_DEP_4) | instskip(NEXT) | instid1(VALU_DEP_4)
	v_add_f32_e32 v131, v153, v150
	v_fmamk_f32 v153, v107, 0x3f4178ce, v157
	v_mul_f32_e32 v156, 0xbf4178ce, v126
	v_add_f32_e32 v150, v41, v154
	v_mul_f32_e32 v154, 0xbf68dda4, v125
	v_add_f32_e32 v49, v51, v49
	v_dual_add_f32 v51, v149, v118 :: v_dual_fmamk_f32 v126, v112, 0xbf7d64f0, v133
	s_delay_alu instid0(VALU_DEP_4) | instskip(NEXT) | instid1(VALU_DEP_4)
	v_dual_add_f32 v125, v153, v150 :: v_dual_fmamk_f32 v150, v110, 0xbe903f40, v132
	v_fmamk_f32 v153, v105, 0x3ed4b147, v154
	v_mul_f32_e32 v134, 0x3f575c64, v134
	v_fmac_f32_e32 v163, 0xbf4178ce, v108
	v_add_f32_e32 v45, v45, v49
	v_add_f32_e32 v125, v150, v125
	v_dual_add_f32 v150, v40, v153 :: v_dual_fmamk_f32 v153, v106, 0xbf27a4f4, v156
	v_fmac_f32_e32 v167, 0xbe11bafb, v113
	v_add_f32_e32 v49, v41, v163
	s_delay_alu instid0(VALU_DEP_4) | instskip(SKIP_1) | instid1(VALU_DEP_4)
	v_add_f32_e32 v125, v126, v125
	v_fmamk_f32 v126, v114, 0xbf0a6770, v134
	v_dual_add_f32 v150, v153, v150 :: v_dual_add_f32 v139, v167, v139
	v_fmamk_f32 v167, v109, 0x3f575c64, v172
	s_delay_alu instid0(VALU_DEP_3) | instskip(SKIP_2) | instid1(VALU_DEP_4)
	v_dual_fmamk_f32 v153, v109, 0xbf75a155, v128 :: v_dual_add_f32 v126, v126, v125
	v_add_f32_e32 v45, v47, v45
	v_add_f32_e32 v47, v162, v49
	;; [unrolled: 1-line block ×3, first 2 shown]
	v_fmamk_f32 v167, v111, 0xbf75a155, v169
	v_add_f32_e32 v125, v153, v150
	v_fma_f32 v49, 0x3ed4b147, v105, -v154
	v_dual_add_f32 v46, v168, v47 :: v_dual_fmac_f32 v161, 0xbf68dda4, v108
	s_delay_alu instid0(VALU_DEP_4)
	v_add_f32_e32 v165, v167, v165
	v_fmamk_f32 v167, v113, 0x3ed4b147, v173
	v_add_f32_e32 v57, v144, v125
	v_fmamk_f32 v125, v113, 0x3f575c64, v127
	v_add_f32_e32 v41, v41, v161
	v_fmac_f32_e32 v157, 0xbf4178ce, v107
	v_dual_add_f32 v141, v167, v165 :: v_dual_fmac_f32 v132, 0x3e903f40, v110
	s_delay_alu instid0(VALU_DEP_4) | instskip(SKIP_1) | instid1(VALU_DEP_4)
	v_add_f32_e32 v125, v125, v57
	v_add_f32_e32 v57, v143, v115
	;; [unrolled: 1-line block ×3, first 2 shown]
	v_dual_add_f32 v53, v56, v120 :: v_dual_fmac_f32 v134, 0x3f0a6770, v114
	s_delay_alu instid0(VALU_DEP_3) | instskip(NEXT) | instid1(VALU_DEP_3)
	v_dual_sub_f32 v56, v123, v151 :: v_dual_add_f32 v57, v40, v57
	v_dual_add_f32 v130, v158, v130 :: v_dual_add_f32 v41, v132, v41
	v_dual_fmac_f32 v133, 0x3f7d64f0, v112 :: v_dual_add_f32 v46, v166, v46
	s_delay_alu instid0(VALU_DEP_3) | instskip(NEXT) | instid1(VALU_DEP_3)
	v_add_f32_e32 v52, v52, v57
	v_dual_add_f32 v130, v159, v130 :: v_dual_add_f32 v45, v84, v45
	s_delay_alu instid0(VALU_DEP_2) | instskip(SKIP_1) | instid1(VALU_DEP_3)
	v_add_f32_e32 v48, v54, v52
	v_fma_f32 v52, 0x3f575c64, v113, -v127
	v_add_f32_e32 v130, v160, v130
	s_delay_alu instid0(VALU_DEP_3) | instskip(NEXT) | instid1(VALU_DEP_1)
	v_dual_add_f32 v48, v51, v48 :: v_dual_add_f32 v51, v133, v41
	v_dual_add_f32 v41, v171, v46 :: v_dual_add_f32 v42, v50, v48
	v_fma_f32 v48, 0xbf27a4f4, v105, -v164
	v_dual_add_f32 v53, v56, v53 :: v_dual_and_b32 v50, 0xffff, v90
	s_delay_alu instid0(VALU_DEP_1) | instskip(SKIP_3) | instid1(VALU_DEP_3)
	v_dual_add_f32 v47, v40, v48 :: v_dual_lshlrev_b32 v50, 3, v50
	v_fma_f32 v48, 0xbe11bafb, v106, -v170
	v_add_f32_e32 v40, v40, v49
	v_fma_f32 v49, 0xbf27a4f4, v106, -v156
	v_add_f32_e32 v47, v48, v47
	v_fma_f32 v48, 0x3f575c64, v109, -v172
	s_delay_alu instid0(VALU_DEP_3) | instskip(SKIP_1) | instid1(VALU_DEP_3)
	v_add_f32_e32 v40, v49, v40
	v_fma_f32 v49, 0xbf75a155, v109, -v128
	v_add_f32_e32 v47, v48, v47
	v_fma_f32 v48, 0xbf75a155, v111, -v169
	s_delay_alu instid0(VALU_DEP_3) | instskip(SKIP_1) | instid1(VALU_DEP_3)
	v_add_f32_e32 v40, v49, v40
	v_fma_f32 v49, 0x3ed4b147, v113, -v173
	v_add_f32_e32 v47, v48, v47
	v_fma_f32 v48, 0xbe11bafb, v111, -v129
	s_delay_alu instid0(VALU_DEP_1) | instskip(NEXT) | instid1(VALU_DEP_3)
	v_dual_add_f32 v43, v55, v53 :: v_dual_add_f32 v48, v48, v40
	v_add_f32_e32 v40, v49, v47
	s_delay_alu instid0(VALU_DEP_2)
	v_dual_add_f32 v47, v134, v51 :: v_dual_add_f32 v46, v52, v48
	ds_store_2addr_b64 v50, v[44:45], v[42:43] offset1:1
	ds_store_2addr_b64 v50, v[125:126], v[130:131] offset0:2 offset1:3
	ds_store_2addr_b64 v50, v[141:142], v[139:140] offset0:4 offset1:5
	;; [unrolled: 1-line block ×4, first 2 shown]
	ds_store_b64 v50, v[85:86] offset:80
.LBB0_21:
	s_wait_alu 0xfffe
	s_or_b32 exec_lo, exec_lo, s1
	v_add_nc_u32_e32 v40, 0x1800, v89
	global_wb scope:SCOPE_SE
	s_wait_dscnt 0x0
	s_barrier_signal -1
	s_barrier_wait -1
	global_inv scope:SCOPE_SE
	ds_load_2addr_b64 v[40:43], v40 offset0:24 offset1:222
	s_wait_dscnt 0x0
	v_mul_f32_e32 v83, v68, v43
	v_mul_f32_e32 v68, v68, v42
	s_delay_alu instid0(VALU_DEP_2) | instskip(NEXT) | instid1(VALU_DEP_2)
	v_dual_fmac_f32 v83, v67, v42 :: v_dual_add_nc_u32 v44, 0x2400, v89
	v_fma_f32 v43, v67, v43, -v68
	v_add_nc_u32_e32 v48, 0x3000, v89
	ds_load_2addr_b64 v[44:47], v44 offset0:36 offset1:234
	ds_load_2addr_b64 v[48:51], v48 offset0:48 offset1:246
	s_wait_dscnt 0x0
	v_dual_mul_f32 v90, v66, v47 :: v_dual_mul_f32 v105, v64, v49
	v_add_nc_u32_e32 v56, 0xc00, v89
	v_mul_f32_e32 v106, v62, v51
	v_mul_f32_e32 v62, v62, v50
	s_delay_alu instid0(VALU_DEP_4)
	v_dual_fmac_f32 v90, v65, v46 :: v_dual_fmac_f32 v105, v63, v48
	ds_load_2addr_b64 v[52:55], v89 offset1:198
	ds_load_2addr_b64 v[56:59], v56 offset0:12 offset1:210
	v_mul_f32_e32 v64, v64, v48
	v_fmac_f32_e32 v106, v61, v50
	global_wb scope:SCOPE_SE
	s_wait_dscnt 0x0
	s_barrier_signal -1
	s_barrier_wait -1
	v_fma_f32 v63, v63, v49, -v64
	v_fma_f32 v64, v61, v51, -v62
	v_mul_f32_e32 v66, v66, v46
	global_inv scope:SCOPE_SE
	v_sub_f32_e32 v43, v53, v43
	v_sub_f32_e32 v42, v52, v83
	v_dual_sub_f32 v46, v56, v90 :: v_dual_sub_f32 v61, v58, v105
	v_sub_f32_e32 v62, v59, v63
	s_delay_alu instid0(VALU_DEP_4)
	v_fma_f32 v49, v53, 2.0, -v43
	v_sub_f32_e32 v53, v41, v64
	v_fma_f32 v47, v65, v47, -v66
	v_mul_f32_e32 v84, v70, v45
	v_mul_f32_e32 v70, v70, v44
	v_fma_f32 v48, v52, 2.0, -v42
	s_delay_alu instid0(VALU_DEP_4) | instskip(NEXT) | instid1(VALU_DEP_4)
	v_dual_sub_f32 v52, v40, v106 :: v_dual_sub_f32 v47, v57, v47
	v_fmac_f32_e32 v84, v69, v44
	s_delay_alu instid0(VALU_DEP_4) | instskip(SKIP_1) | instid1(VALU_DEP_4)
	v_fma_f32 v45, v69, v45, -v70
	v_fma_f32 v41, v41, 2.0, -v53
	v_fma_f32 v40, v40, 2.0, -v52
	s_delay_alu instid0(VALU_DEP_3) | instskip(NEXT) | instid1(VALU_DEP_1)
	v_dual_sub_f32 v44, v54, v84 :: v_dual_sub_f32 v45, v55, v45
	v_fma_f32 v50, v54, 2.0, -v44
	s_delay_alu instid0(VALU_DEP_2)
	v_fma_f32 v51, v55, 2.0, -v45
	v_fma_f32 v54, v56, 2.0, -v46
	;; [unrolled: 1-line block ×5, first 2 shown]
	ds_store_2addr_b64 v97, v[48:49], v[42:43] offset1:11
	ds_store_2addr_b64 v96, v[50:51], v[44:45] offset1:11
	;; [unrolled: 1-line block ×5, first 2 shown]
	v_add_nc_u32_e32 v45, 0x2800, v89
	v_add_nc_u32_e32 v44, 0x1400, v89
	global_wb scope:SCOPE_SE
	s_wait_dscnt 0x0
	s_barrier_signal -1
	s_barrier_wait -1
	global_inv scope:SCOPE_SE
	ds_load_2addr_b64 v[40:43], v89 offset1:198
	ds_load_2addr_b64 v[48:51], v44 offset0:20 offset1:218
	ds_load_2addr_b64 v[44:47], v45 offset0:40 offset1:238
	ds_load_b64 v[54:55], v89 offset:3168
	ds_load_b64 v[58:59], v89 offset:8448
	;; [unrolled: 1-line block ×3, first 2 shown]
	s_and_saveexec_b32 s1, s0
	s_cbranch_execz .LBB0_23
; %bb.22:
	ds_load_b64 v[52:53], v89 offset:4752
	ds_load_b64 v[85:86], v89 offset:10032
	;; [unrolled: 1-line block ×3, first 2 shown]
.LBB0_23:
	s_wait_alu 0xfffe
	s_or_b32 exec_lo, exec_lo, s1
	s_wait_dscnt 0x3
	v_mul_f32_e32 v62, v19, v45
	v_mul_f32_e32 v61, v17, v49
	;; [unrolled: 1-line block ×3, first 2 shown]
	global_wb scope:SCOPE_SE
	s_wait_dscnt 0x0
	s_barrier_signal -1
	v_fmac_f32_e32 v62, v18, v44
	v_mul_f32_e32 v44, v5, v59
	v_mul_f32_e32 v17, v17, v48
	v_fmac_f32_e32 v61, v16, v48
	v_fma_f32 v18, v18, v45, -v19
	v_mul_f32_e32 v48, v3, v82
	v_fmac_f32_e32 v44, v4, v58
	v_fma_f32 v16, v16, v49, -v17
	v_mul_f32_e32 v17, v13, v51
	s_delay_alu instid0(VALU_DEP_4) | instskip(SKIP_2) | instid1(VALU_DEP_3)
	v_dual_mul_f32 v19, v15, v47 :: v_dual_fmac_f32 v48, v2, v81
	v_mul_f32_e32 v15, v15, v46
	s_barrier_wait -1
	v_fmac_f32_e32 v17, v12, v50
	v_mul_f32_e32 v5, v5, v58
	global_inv scope:SCOPE_SE
	v_fma_f32 v45, v4, v59, -v5
	v_sub_f32_e32 v5, v16, v18
	v_fmac_f32_e32 v19, v14, v46
	v_mul_f32_e32 v46, v1, v86
	s_delay_alu instid0(VALU_DEP_1) | instskip(NEXT) | instid1(VALU_DEP_1)
	v_dual_mul_f32 v13, v13, v50 :: v_dual_fmac_f32 v46, v0, v85
	v_fma_f32 v12, v12, v51, -v13
	v_fma_f32 v13, v14, v47, -v15
	v_add_f32_e32 v14, v42, v17
	v_mul_f32_e32 v1, v1, v85
	v_mul_f32_e32 v15, v7, v57
	s_delay_alu instid0(VALU_DEP_2) | instskip(SKIP_2) | instid1(VALU_DEP_2)
	v_fma_f32 v49, v0, v86, -v1
	v_dual_add_f32 v0, v61, v62 :: v_dual_add_f32 v1, v40, v61
	v_mul_f32_e32 v7, v7, v56
	v_fma_f32 v0, -0.5, v0, v40
	s_delay_alu instid0(VALU_DEP_1) | instskip(SKIP_2) | instid1(VALU_DEP_1)
	v_dual_fmac_f32 v15, v6, v56 :: v_dual_fmamk_f32 v4, v5, 0xbf5db3d7, v0
	v_fmac_f32_e32 v0, 0x3f5db3d7, v5
	v_mul_f32_e32 v3, v3, v81
	v_fma_f32 v50, v2, v82, -v3
	v_add_f32_e32 v3, v16, v18
	v_add_f32_e32 v2, v1, v62
	v_fma_f32 v47, v6, v57, -v7
	v_add_f32_e32 v6, v41, v16
	v_dual_sub_f32 v7, v61, v62 :: v_dual_sub_f32 v16, v12, v13
	v_fma_f32 v1, -0.5, v3, v41
	s_delay_alu instid0(VALU_DEP_3) | instskip(NEXT) | instid1(VALU_DEP_2)
	v_dual_add_f32 v3, v6, v18 :: v_dual_add_f32 v6, v17, v19
	v_dual_sub_f32 v18, v45, v47 :: v_dual_fmamk_f32 v5, v7, 0x3f5db3d7, v1
	v_fmac_f32_e32 v1, 0xbf5db3d7, v7
	v_add_f32_e32 v7, v12, v13
	s_delay_alu instid0(VALU_DEP_4) | instskip(SKIP_1) | instid1(VALU_DEP_3)
	v_fma_f32 v42, -0.5, v6, v42
	v_add_f32_e32 v6, v14, v19
	v_dual_add_f32 v14, v43, v12 :: v_dual_fmac_f32 v43, -0.5, v7
	s_delay_alu instid0(VALU_DEP_3) | instskip(SKIP_2) | instid1(VALU_DEP_4)
	v_fmamk_f32 v12, v16, 0xbf5db3d7, v42
	v_fmac_f32_e32 v42, 0x3f5db3d7, v16
	v_add_f32_e32 v16, v54, v44
	v_dual_add_f32 v7, v14, v13 :: v_dual_add_f32 v14, v44, v15
	s_delay_alu instid0(VALU_DEP_1) | instskip(NEXT) | instid1(VALU_DEP_3)
	v_fma_f32 v54, -0.5, v14, v54
	v_add_f32_e32 v14, v16, v15
	v_dual_sub_f32 v17, v17, v19 :: v_dual_add_f32 v16, v55, v45
	s_delay_alu instid0(VALU_DEP_3) | instskip(NEXT) | instid1(VALU_DEP_2)
	v_dual_sub_f32 v19, v49, v50 :: v_dual_fmamk_f32 v40, v18, 0xbf5db3d7, v54
	v_dual_fmac_f32 v54, 0x3f5db3d7, v18 :: v_dual_fmamk_f32 v13, v17, 0x3f5db3d7, v43
	v_dual_fmac_f32 v43, 0xbf5db3d7, v17 :: v_dual_add_f32 v18, v52, v46
	v_add_f32_e32 v17, v45, v47
	v_sub_f32_e32 v45, v46, v48
	s_delay_alu instid0(VALU_DEP_2) | instskip(SKIP_2) | instid1(VALU_DEP_1)
	v_fmac_f32_e32 v55, -0.5, v17
	v_dual_sub_f32 v17, v44, v15 :: v_dual_add_f32 v44, v53, v49
	v_dual_add_f32 v15, v16, v47 :: v_dual_add_f32 v16, v46, v48
	v_fmac_f32_e32 v52, -0.5, v16
	s_delay_alu instid0(VALU_DEP_3) | instskip(SKIP_1) | instid1(VALU_DEP_3)
	v_dual_add_f32 v16, v18, v48 :: v_dual_fmamk_f32 v41, v17, 0x3f5db3d7, v55
	v_fmac_f32_e32 v55, 0xbf5db3d7, v17
	v_dual_add_f32 v17, v49, v50 :: v_dual_fmamk_f32 v18, v19, 0xbf5db3d7, v52
	v_fmac_f32_e32 v52, 0x3f5db3d7, v19
	ds_store_2addr_b64 v100, v[2:3], v[4:5] offset1:22
	ds_store_b64 v100, v[0:1] offset:352
	ds_store_2addr_b64 v99, v[6:7], v[12:13] offset1:22
	ds_store_b64 v99, v[42:43] offset:352
	;; [unrolled: 2-line block ×3, first 2 shown]
	v_fmac_f32_e32 v53, -0.5, v17
	v_add_f32_e32 v17, v44, v50
	s_delay_alu instid0(VALU_DEP_2)
	v_fmamk_f32 v19, v45, 0x3f5db3d7, v53
	v_fmac_f32_e32 v53, 0xbf5db3d7, v45
	s_and_saveexec_b32 s1, s0
	s_cbranch_execz .LBB0_25
; %bb.24:
	v_mad_u16 v0, 0x42, v91, v92
	s_delay_alu instid0(VALU_DEP_1) | instskip(NEXT) | instid1(VALU_DEP_1)
	v_and_b32_e32 v0, 0xffff, v0
	v_lshlrev_b32_e32 v0, 3, v0
	ds_store_2addr_b64 v0, v[16:17], v[18:19] offset1:22
	ds_store_b64 v0, v[52:53] offset:352
.LBB0_25:
	s_wait_alu 0xfffe
	s_or_b32 exec_lo, exec_lo, s1
	v_add_nc_u32_e32 v4, 0x1400, v89
	v_add_nc_u32_e32 v5, 0x2800, v89
	global_wb scope:SCOPE_SE
	s_wait_dscnt 0x0
	s_barrier_signal -1
	s_barrier_wait -1
	global_inv scope:SCOPE_SE
	ds_load_2addr_b64 v[0:3], v89 offset1:198
	ds_load_2addr_b64 v[12:15], v4 offset0:20 offset1:218
	ds_load_2addr_b64 v[4:7], v5 offset0:40 offset1:238
	ds_load_b64 v[40:41], v89 offset:3168
	ds_load_b64 v[44:45], v89 offset:8448
	;; [unrolled: 1-line block ×3, first 2 shown]
	s_and_saveexec_b32 s1, s0
	s_cbranch_execz .LBB0_27
; %bb.26:
	ds_load_b64 v[16:17], v89 offset:4752
	ds_load_b64 v[18:19], v89 offset:10032
	;; [unrolled: 1-line block ×3, first 2 shown]
.LBB0_27:
	s_wait_alu 0xfffe
	s_or_b32 exec_lo, exec_lo, s1
	s_wait_dscnt 0x4
	v_mul_f32_e32 v46, v33, v13
	v_mul_f32_e32 v33, v33, v12
	s_wait_dscnt 0x3
	v_mul_f32_e32 v47, v35, v5
	v_mul_f32_e32 v35, v35, v4
	global_wb scope:SCOPE_SE
	s_wait_dscnt 0x0
	v_fmac_f32_e32 v46, v32, v12
	v_fma_f32 v12, v32, v13, -v33
	v_mul_f32_e32 v13, v29, v15
	v_dual_fmac_f32 v47, v34, v4 :: v_dual_mul_f32 v4, v29, v14
	v_mul_f32_e32 v29, v31, v7
	v_fma_f32 v5, v34, v5, -v35
	s_delay_alu instid0(VALU_DEP_4) | instskip(SKIP_4) | instid1(VALU_DEP_4)
	v_fmac_f32_e32 v13, v28, v14
	v_mul_f32_e32 v14, v31, v6
	v_fma_f32 v15, v28, v15, -v4
	v_mul_f32_e32 v4, v25, v44
	v_dual_mul_f32 v28, v25, v45 :: v_dual_fmac_f32 v29, v30, v6
	v_fma_f32 v25, v30, v7, -v14
	v_mul_f32_e32 v30, v27, v43
	v_mul_f32_e32 v6, v27, v42
	s_delay_alu instid0(VALU_DEP_4)
	v_fmac_f32_e32 v28, v24, v44
	v_fma_f32 v24, v24, v45, -v4
	v_dual_add_f32 v4, v46, v47 :: v_dual_add_f32 v7, v0, v46
	v_sub_f32_e32 v14, v12, v5
	v_add_f32_e32 v31, v15, v25
	s_barrier_signal -1
	s_delay_alu instid0(VALU_DEP_3)
	v_fma_f32 v0, -0.5, v4, v0
	v_dual_add_f32 v4, v7, v47 :: v_dual_add_f32 v7, v1, v12
	v_fma_f32 v27, v26, v43, -v6
	v_add_f32_e32 v6, v12, v5
	v_fmac_f32_e32 v30, v26, v42
	v_sub_f32_e32 v12, v46, v47
	v_add_f32_e32 v26, v2, v13
	v_add_f32_e32 v5, v7, v5
	v_fma_f32 v1, -0.5, v6, v1
	s_barrier_wait -1
	global_inv scope:SCOPE_SE
	v_fmamk_f32 v7, v12, 0x3f5db3d7, v1
	v_dual_fmac_f32 v1, 0xbf5db3d7, v12 :: v_dual_add_f32 v12, v26, v29
	v_sub_f32_e32 v26, v13, v29
	v_sub_f32_e32 v32, v15, v25
	v_dual_add_f32 v15, v3, v15 :: v_dual_fmamk_f32 v6, v14, 0xbf5db3d7, v0
	v_dual_fmac_f32 v3, -0.5, v31 :: v_dual_fmac_f32 v0, 0x3f5db3d7, v14
	v_add_f32_e32 v14, v13, v29
	s_delay_alu instid0(VALU_DEP_3)
	v_add_f32_e32 v13, v15, v25
	v_add_f32_e32 v25, v28, v30
	;; [unrolled: 1-line block ×4, first 2 shown]
	v_fma_f32 v2, -0.5, v14, v2
	v_sub_f32_e32 v28, v28, v30
	v_fma_f32 v40, -0.5, v25, v40
	v_sub_f32_e32 v25, v24, v27
	v_fmamk_f32 v15, v26, 0x3f5db3d7, v3
	v_dual_fmamk_f32 v14, v32, 0xbf5db3d7, v2 :: v_dual_fmac_f32 v3, 0xbf5db3d7, v26
	v_add_f32_e32 v26, v24, v27
	s_delay_alu instid0(VALU_DEP_1) | instskip(SKIP_3) | instid1(VALU_DEP_4)
	v_dual_fmac_f32 v2, 0x3f5db3d7, v32 :: v_dual_fmac_f32 v41, -0.5, v26
	v_add_f32_e32 v24, v29, v30
	v_fmamk_f32 v26, v25, 0xbf5db3d7, v40
	v_dual_fmac_f32 v40, 0x3f5db3d7, v25 :: v_dual_add_f32 v25, v31, v27
	v_fmamk_f32 v27, v28, 0x3f5db3d7, v41
	v_fmac_f32_e32 v41, 0xbf5db3d7, v28
	ds_store_2addr_b64 v104, v[4:5], v[6:7] offset1:66
	ds_store_b64 v104, v[0:1] offset:1056
	ds_store_2addr_b64 v103, v[12:13], v[14:15] offset1:66
	ds_store_b64 v103, v[2:3] offset:1056
	;; [unrolled: 2-line block ×3, first 2 shown]
	s_and_saveexec_b32 s1, s0
	s_cbranch_execz .LBB0_29
; %bb.28:
	v_dual_mul_f32 v0, v9, v18 :: v_dual_mul_f32 v1, v11, v52
	v_dual_mul_f32 v2, v9, v19 :: v_dual_lshlrev_b32 v7, 3, v101
	s_delay_alu instid0(VALU_DEP_2) | instskip(NEXT) | instid1(VALU_DEP_3)
	v_fma_f32 v0, v8, v19, -v0
	v_fma_f32 v3, v10, v53, -v1
	v_mul_f32_e32 v6, v11, v53
	s_delay_alu instid0(VALU_DEP_3) | instskip(NEXT) | instid1(VALU_DEP_2)
	v_dual_fmac_f32 v2, v8, v18 :: v_dual_add_f32 v5, v17, v0
	v_dual_add_f32 v1, v0, v3 :: v_dual_fmac_f32 v6, v10, v52
	v_sub_f32_e32 v9, v0, v3
	s_delay_alu instid0(VALU_DEP_3) | instskip(NEXT) | instid1(VALU_DEP_3)
	v_add_f32_e32 v3, v5, v3
	v_fma_f32 v1, -0.5, v1, v17
	s_delay_alu instid0(VALU_DEP_4) | instskip(SKIP_2) | instid1(VALU_DEP_3)
	v_add_f32_e32 v4, v2, v6
	v_sub_f32_e32 v8, v2, v6
	v_add_f32_e32 v2, v16, v2
	v_fma_f32 v0, -0.5, v4, v16
	s_delay_alu instid0(VALU_DEP_3) | instskip(NEXT) | instid1(VALU_DEP_3)
	v_fmamk_f32 v5, v8, 0xbf5db3d7, v1
	v_dual_fmac_f32 v1, 0x3f5db3d7, v8 :: v_dual_add_f32 v2, v2, v6
	v_add_nc_u32_e32 v6, 0x3400, v7
	s_delay_alu instid0(VALU_DEP_4)
	v_fmamk_f32 v4, v9, 0x3f5db3d7, v0
	v_fmac_f32_e32 v0, 0xbf5db3d7, v9
	ds_store_2addr_b64 v6, v[2:3], v[0:1] offset0:118 offset1:184
	ds_store_b64 v7, v[4:5] offset:15312
.LBB0_29:
	s_wait_alu 0xfffe
	s_or_b32 exec_lo, exec_lo, s1
	v_add_nc_u32_e32 v24, 0xc00, v89
	global_wb scope:SCOPE_SE
	s_wait_dscnt 0x0
	s_barrier_signal -1
	s_barrier_wait -1
	global_inv scope:SCOPE_SE
	ds_load_2addr_b64 v[0:3], v24 offset0:12 offset1:210
	v_add_nc_u32_e32 v25, 0x1800, v89
	v_add_nc_u32_e32 v26, 0x2400, v89
	s_wait_dscnt 0x0
	v_mul_f32_e32 v28, v37, v1
	v_dual_mul_f32 v40, v37, v3 :: v_dual_add_nc_u32 v27, 0x3000, v89
	v_mul_f32_e32 v29, v37, v0
	s_delay_alu instid0(VALU_DEP_3)
	v_dual_mul_f32 v37, v37, v2 :: v_dual_fmac_f32 v28, v36, v0
	ds_load_2addr_b64 v[4:7], v25 offset0:24 offset1:222
	ds_load_2addr_b64 v[8:11], v26 offset0:36 offset1:234
	;; [unrolled: 1-line block ×3, first 2 shown]
	ds_load_2addr_b64 v[16:19], v89 offset1:198
	v_fmac_f32_e32 v40, v36, v2
	v_fma_f32 v29, v36, v1, -v29
	global_wb scope:SCOPE_SE
	s_wait_dscnt 0x0
	s_barrier_signal -1
	s_barrier_wait -1
	global_inv scope:SCOPE_SE
	v_dual_mul_f32 v30, v39, v5 :: v_dual_mul_f32 v33, v21, v8
	v_dual_mul_f32 v32, v21, v9 :: v_dual_mul_f32 v41, v39, v7
	v_mul_f32_e32 v34, v23, v13
	v_mul_f32_e32 v35, v23, v12
	s_delay_alu instid0(VALU_DEP_4) | instskip(NEXT) | instid1(VALU_DEP_4)
	v_fmac_f32_e32 v30, v38, v4
	v_dual_fmac_f32 v32, v20, v8 :: v_dual_fmac_f32 v41, v38, v6
	s_delay_alu instid0(VALU_DEP_4) | instskip(NEXT) | instid1(VALU_DEP_4)
	v_dual_fmac_f32 v34, v22, v12 :: v_dual_mul_f32 v1, v21, v10
	v_fma_f32 v12, v22, v13, -v35
	v_mul_f32_e32 v0, v39, v6
	v_mul_f32_e32 v31, v39, v4
	v_fma_f32 v35, v36, v3, -v37
	v_mul_f32_e32 v37, v21, v11
	v_sub_f32_e32 v3, v29, v12
	v_fma_f32 v36, v38, v7, -v0
	v_add_f32_e32 v0, v30, v32
	v_fma_f32 v31, v38, v5, -v31
	v_fmac_f32_e32 v37, v20, v10
	v_fma_f32 v33, v20, v9, -v33
	v_dual_mul_f32 v13, v23, v15 :: v_dual_add_f32 v2, v16, v28
	v_fma_f32 v0, -0.5, v0, v16
	v_fma_f32 v20, v20, v11, -v1
	s_delay_alu instid0(VALU_DEP_4) | instskip(NEXT) | instid1(VALU_DEP_4)
	v_dual_sub_f32 v5, v31, v33 :: v_dual_sub_f32 v4, v28, v30
	v_fmac_f32_e32 v13, v22, v14
	s_delay_alu instid0(VALU_DEP_4) | instskip(SKIP_1) | instid1(VALU_DEP_2)
	v_dual_add_f32 v1, v2, v30 :: v_dual_fmamk_f32 v2, v3, 0xbf737871, v0
	v_dual_sub_f32 v6, v34, v32 :: v_dual_add_f32 v7, v28, v34
	v_dual_mul_f32 v8, v23, v14 :: v_dual_add_f32 v1, v1, v32
	s_delay_alu instid0(VALU_DEP_2) | instskip(NEXT) | instid1(VALU_DEP_3)
	v_dual_fmac_f32 v2, 0xbf167918, v5 :: v_dual_add_f32 v9, v4, v6
	v_fma_f32 v4, -0.5, v7, v16
	s_delay_alu instid0(VALU_DEP_3) | instskip(NEXT) | instid1(VALU_DEP_4)
	v_fma_f32 v15, v22, v15, -v8
	v_dual_add_f32 v6, v1, v34 :: v_dual_sub_f32 v1, v30, v28
	v_dual_fmac_f32 v0, 0x3f737871, v3 :: v_dual_sub_f32 v7, v32, v34
	s_delay_alu instid0(VALU_DEP_4) | instskip(SKIP_1) | instid1(VALU_DEP_3)
	v_dual_fmamk_f32 v8, v5, 0x3f737871, v4 :: v_dual_add_f32 v11, v31, v33
	v_add_f32_e32 v10, v17, v29
	v_dual_fmac_f32 v2, 0x3e9e377a, v9 :: v_dual_add_f32 v7, v1, v7
	v_fmac_f32_e32 v4, 0xbf737871, v5
	s_delay_alu instid0(VALU_DEP_4)
	v_fma_f32 v1, -0.5, v11, v17
	v_dual_sub_f32 v11, v28, v34 :: v_dual_fmac_f32 v0, 0x3f167918, v5
	v_add_f32_e32 v5, v10, v31
	v_fmac_f32_e32 v8, 0xbf167918, v3
	v_sub_f32_e32 v10, v30, v32
	v_sub_f32_e32 v14, v29, v31
	v_fmac_f32_e32 v0, 0x3e9e377a, v9
	v_add_f32_e32 v9, v5, v33
	v_dual_add_f32 v5, v29, v12 :: v_dual_fmac_f32 v4, 0x3f167918, v3
	v_fmamk_f32 v3, v11, 0x3f737871, v1
	v_dual_fmac_f32 v1, 0xbf737871, v11 :: v_dual_sub_f32 v22, v13, v37
	s_delay_alu instid0(VALU_DEP_3) | instskip(NEXT) | instid1(VALU_DEP_3)
	v_fma_f32 v5, -0.5, v5, v17
	v_dual_sub_f32 v16, v12, v33 :: v_dual_fmac_f32 v3, 0x3f167918, v10
	v_dual_fmac_f32 v4, 0x3e9e377a, v7 :: v_dual_add_f32 v17, v41, v37
	s_delay_alu instid0(VALU_DEP_2) | instskip(SKIP_4) | instid1(VALU_DEP_3)
	v_dual_fmac_f32 v1, 0xbf167918, v10 :: v_dual_add_f32 v14, v14, v16
	v_dual_fmac_f32 v8, 0x3e9e377a, v7 :: v_dual_add_f32 v7, v9, v12
	v_dual_fmamk_f32 v9, v10, 0xbf737871, v5 :: v_dual_sub_f32 v16, v31, v29
	v_dual_sub_f32 v12, v33, v12 :: v_dual_fmac_f32 v5, 0x3f737871, v10
	v_fma_f32 v10, -0.5, v17, v18
	v_fmac_f32_e32 v9, 0x3f167918, v11
	s_delay_alu instid0(VALU_DEP_3) | instskip(SKIP_3) | instid1(VALU_DEP_4)
	v_dual_sub_f32 v17, v35, v15 :: v_dual_add_f32 v16, v16, v12
	v_dual_add_f32 v12, v18, v40 :: v_dual_fmac_f32 v1, 0x3e9e377a, v14
	v_fmac_f32_e32 v3, 0x3e9e377a, v14
	v_fmac_f32_e32 v5, 0xbf167918, v11
	v_dual_fmac_f32 v9, 0x3e9e377a, v16 :: v_dual_sub_f32 v14, v40, v41
	s_delay_alu instid0(VALU_DEP_4) | instskip(SKIP_1) | instid1(VALU_DEP_3)
	v_dual_add_f32 v11, v12, v41 :: v_dual_fmamk_f32 v12, v17, 0xbf737871, v10
	v_dual_sub_f32 v21, v36, v20 :: v_dual_fmac_f32 v10, 0x3f737871, v17
	v_dual_add_f32 v23, v40, v13 :: v_dual_add_f32 v22, v14, v22
	v_sub_f32_e32 v28, v40, v13
	s_delay_alu instid0(VALU_DEP_3) | instskip(SKIP_3) | instid1(VALU_DEP_4)
	v_fmac_f32_e32 v12, 0xbf167918, v21
	v_add_f32_e32 v11, v11, v37
	v_fmac_f32_e32 v10, 0x3f167918, v21
	v_fma_f32 v18, -0.5, v23, v18
	v_dual_sub_f32 v23, v37, v13 :: v_dual_fmac_f32 v12, 0x3e9e377a, v22
	s_delay_alu instid0(VALU_DEP_4) | instskip(SKIP_2) | instid1(VALU_DEP_2)
	v_dual_fmac_f32 v5, 0x3e9e377a, v16 :: v_dual_add_f32 v14, v11, v13
	v_add_f32_e32 v11, v36, v20
	v_dual_sub_f32 v29, v15, v20 :: v_dual_sub_f32 v30, v36, v35
	v_fma_f32 v11, -0.5, v11, v19
	v_fmamk_f32 v16, v21, 0x3f737871, v18
	v_dual_fmac_f32 v18, 0xbf737871, v21 :: v_dual_add_f32 v21, v19, v35
	v_fmac_f32_e32 v10, 0x3e9e377a, v22
	s_delay_alu instid0(VALU_DEP_4) | instskip(NEXT) | instid1(VALU_DEP_4)
	v_dual_sub_f32 v22, v41, v40 :: v_dual_fmamk_f32 v13, v28, 0x3f737871, v11
	v_fmac_f32_e32 v16, 0xbf167918, v17
	s_delay_alu instid0(VALU_DEP_4) | instskip(SKIP_1) | instid1(VALU_DEP_4)
	v_dual_fmac_f32 v18, 0x3f167918, v17 :: v_dual_add_f32 v17, v21, v36
	v_add_f32_e32 v21, v35, v15
	v_dual_add_f32 v22, v22, v23 :: v_dual_sub_f32 v23, v41, v37
	s_delay_alu instid0(VALU_DEP_1) | instskip(SKIP_1) | instid1(VALU_DEP_2)
	v_dual_fmac_f32 v19, -0.5, v21 :: v_dual_fmac_f32 v18, 0x3e9e377a, v22
	v_dual_sub_f32 v21, v35, v36 :: v_dual_fmac_f32 v16, 0x3e9e377a, v22
	v_dual_add_f32 v22, v17, v20 :: v_dual_fmamk_f32 v17, v23, 0xbf737871, v19
	v_fmac_f32_e32 v13, 0x3f167918, v23
	v_dual_fmac_f32 v11, 0xbf737871, v28 :: v_dual_sub_f32 v20, v20, v15
	s_delay_alu instid0(VALU_DEP_4) | instskip(NEXT) | instid1(VALU_DEP_4)
	v_add_f32_e32 v21, v21, v29
	v_fmac_f32_e32 v17, 0x3f167918, v28
	v_fmac_f32_e32 v19, 0x3f737871, v23
	s_delay_alu instid0(VALU_DEP_4) | instskip(SKIP_2) | instid1(VALU_DEP_4)
	v_dual_fmac_f32 v11, 0xbf167918, v23 :: v_dual_add_f32 v20, v30, v20
	v_add_f32_e32 v15, v22, v15
	v_fmac_f32_e32 v13, 0x3e9e377a, v21
	v_fmac_f32_e32 v19, 0xbf167918, v28
	s_delay_alu instid0(VALU_DEP_4) | instskip(SKIP_1) | instid1(VALU_DEP_3)
	v_fmac_f32_e32 v11, 0x3e9e377a, v21
	v_fmac_f32_e32 v17, 0x3e9e377a, v20
	;; [unrolled: 1-line block ×3, first 2 shown]
	ds_store_2addr_b64 v89, v[6:7], v[2:3] offset1:198
	ds_store_2addr_b64 v24, v[8:9], v[4:5] offset0:12 offset1:210
	ds_store_2addr_b64 v25, v[0:1], v[14:15] offset0:24 offset1:222
	;; [unrolled: 1-line block ×4, first 2 shown]
	global_wb scope:SCOPE_SE
	s_wait_dscnt 0x0
	s_barrier_signal -1
	s_barrier_wait -1
	global_inv scope:SCOPE_SE
	ds_load_2addr_b64 v[0:3], v25 offset0:24 offset1:222
	ds_load_2addr_b64 v[4:7], v26 offset0:36 offset1:234
	;; [unrolled: 1-line block ×3, first 2 shown]
	ds_load_2addr_b64 v[12:15], v89 offset1:198
	ds_load_2addr_b64 v[16:19], v24 offset0:12 offset1:210
	s_wait_dscnt 0x4
	v_mul_f32_e32 v20, v76, v3
	v_mul_f32_e32 v21, v76, v2
	s_wait_dscnt 0x3
	v_mul_f32_e32 v22, v80, v5
	v_mul_f32_e32 v23, v80, v4
	;; [unrolled: 1-line block ×3, first 2 shown]
	v_fmac_f32_e32 v20, v75, v2
	v_mul_f32_e32 v2, v72, v6
	v_fmac_f32_e32 v22, v79, v4
	s_wait_dscnt 0x2
	v_mul_f32_e32 v4, v74, v8
	v_fma_f32 v3, v75, v3, -v21
	v_dual_mul_f32 v21, v74, v9 :: v_dual_fmac_f32 v28, v71, v6
	v_fma_f32 v29, v71, v7, -v2
	s_wait_dscnt 0x1
	v_sub_f32_e32 v2, v12, v20
	v_mul_f32_e32 v6, v78, v10
	v_fma_f32 v5, v79, v5, -v23
	v_mul_f32_e32 v23, v78, v11
	v_fmac_f32_e32 v21, v73, v8
	v_fma_f32 v30, v73, v9, -v4
	v_sub_f32_e32 v4, v14, v22
	s_wait_dscnt 0x0
	v_dual_sub_f32 v8, v16, v28 :: v_dual_fmac_f32 v23, v77, v10
	v_fma_f32 v31, v77, v11, -v6
	v_sub_f32_e32 v3, v13, v3
	v_fma_f32 v10, v14, 2.0, -v4
	v_sub_f32_e32 v14, v18, v21
	v_dual_sub_f32 v5, v15, v5 :: v_dual_sub_f32 v20, v0, v23
	v_sub_f32_e32 v9, v17, v29
	v_sub_f32_e32 v21, v1, v31
	v_fma_f32 v6, v12, 2.0, -v2
	s_delay_alu instid0(VALU_DEP_4)
	v_fma_f32 v11, v15, 2.0, -v5
	v_sub_f32_e32 v15, v19, v30
	v_fma_f32 v7, v13, 2.0, -v3
	v_fma_f32 v12, v16, 2.0, -v8
	;; [unrolled: 1-line block ×7, first 2 shown]
	ds_store_2addr_b64 v89, v[6:7], v[10:11] offset1:198
	ds_store_2addr_b64 v26, v[4:5], v[8:9] offset0:36 offset1:234
	ds_store_2addr_b64 v24, v[12:13], v[16:17] offset0:12 offset1:210
	;; [unrolled: 1-line block ×4, first 2 shown]
	global_wb scope:SCOPE_SE
	s_wait_dscnt 0x0
	s_barrier_signal -1
	s_barrier_wait -1
	global_inv scope:SCOPE_SE
	s_and_b32 exec_lo, exec_lo, vcc_lo
	s_cbranch_execz .LBB0_31
; %bb.30:
	s_clause 0xa
	global_load_b64 v[20:21], v88, s[12:13]
	global_load_b64 v[22:23], v88, s[12:13] offset:1440
	global_load_b64 v[24:25], v88, s[12:13] offset:2880
	;; [unrolled: 1-line block ×10, first 2 shown]
	v_mad_co_u64_u32 v[42:43], null, s6, v60, 0
	ds_load_b64 v[44:45], v89
	v_mad_co_u64_u32 v[46:47], null, s4, v87, 0
	v_add_nc_u32_e32 v0, 0x400, v88
	v_add_nc_u32_e32 v8, 0x1c00, v88
	v_dual_mov_b32 v12, v43 :: v_dual_add_nc_u32 v13, 0x2600, v88
	v_add_nc_u32_e32 v16, 0x3200, v88
	s_mov_b32 s0, 0xb37565e2
	v_mov_b32_e32 v43, v47
	ds_load_2addr_b64 v[0:3], v0 offset0:52 offset1:232
	v_mad_co_u64_u32 v[48:49], null, s7, v60, v[12:13]
	v_add_nc_u32_e32 v4, 0x1000, v88
	s_mov_b32 s1, 0x3f408cab
	s_mul_u64 s[2:3], s[4:5], 0x5a0
	s_wait_dscnt 0x1
	v_mad_co_u64_u32 v[49:50], null, s5, v87, v[43:44]
	s_delay_alu instid0(VALU_DEP_3) | instskip(SKIP_2) | instid1(VALU_DEP_1)
	v_mov_b32_e32 v43, v48
	ds_load_2addr_b64 v[4:7], v4 offset0:28 offset1:208
	v_lshlrev_b64_e32 v[42:43], 3, v[42:43]
	v_add_co_u32 v42, vcc_lo, s8, v42
	s_delay_alu instid0(VALU_DEP_2)
	v_add_co_ci_u32_e32 v43, vcc_lo, s9, v43, vcc_lo
	s_wait_loadcnt 0xa
	v_mul_f32_e32 v47, v45, v21
	ds_load_2addr_b64 v[8:11], v8 offset0:4 offset1:184
	v_mul_f32_e32 v21, v44, v21
	ds_load_2addr_b64 v[12:15], v13 offset0:44 offset1:224
	ds_load_2addr_b64 v[16:19], v16 offset0:20 offset1:200
	s_wait_loadcnt_dscnt 0x904
	v_mul_f32_e32 v48, v1, v23
	s_wait_loadcnt 0x8
	v_dual_mul_f32 v23, v0, v23 :: v_dual_mul_f32 v50, v3, v25
	v_mul_f32_e32 v25, v2, v25
	s_wait_loadcnt_dscnt 0x603
	v_dual_mul_f32 v51, v5, v27 :: v_dual_mul_f32 v52, v7, v29
	v_mul_f32_e32 v27, v4, v27
	v_dual_mul_f32 v29, v6, v29 :: v_dual_fmac_f32 v48, v0, v22
	v_fmac_f32_e32 v47, v44, v20
	v_fma_f32 v20, v20, v45, -v21
	v_fma_f32 v21, v22, v1, -v23
	;; [unrolled: 1-line block ×3, first 2 shown]
	v_fmac_f32_e32 v50, v2, v24
	v_fmac_f32_e32 v52, v6, v28
	v_fma_f32 v24, v28, v7, -v29
	v_cvt_f64_f32_e32 v[0:1], v47
	s_wait_loadcnt_dscnt 0x201
	v_dual_mul_f32 v53, v9, v31 :: v_dual_mul_f32 v56, v15, v37
	s_wait_loadcnt_dscnt 0x0
	v_dual_mul_f32 v31, v8, v31 :: v_dual_mul_f32 v58, v19, v41
	v_mul_f32_e32 v54, v11, v33
	v_mul_f32_e32 v33, v10, v33
	;; [unrolled: 1-line block ×5, first 2 shown]
	v_dual_fmac_f32 v51, v4, v26 :: v_dual_fmac_f32 v58, v18, v40
	v_fma_f32 v23, v26, v5, -v27
	v_dual_mul_f32 v57, v17, v39 :: v_dual_fmac_f32 v54, v10, v32
	v_dual_mul_f32 v39, v16, v39 :: v_dual_fmac_f32 v56, v14, v36
	v_mul_f32_e32 v41, v18, v41
	v_fmac_f32_e32 v53, v8, v30
	v_fma_f32 v25, v30, v9, -v31
	v_cvt_f64_f32_e32 v[2:3], v20
	v_fma_f32 v26, v32, v11, -v33
	v_cvt_f64_f32_e32 v[4:5], v48
	v_cvt_f64_f32_e32 v[6:7], v21
	v_fmac_f32_e32 v55, v12, v34
	v_fma_f32 v30, v34, v13, -v35
	v_cvt_f64_f32_e32 v[8:9], v50
	v_cvt_f64_f32_e32 v[10:11], v22
	v_fma_f32 v34, v36, v15, -v37
	v_cvt_f64_f32_e32 v[12:13], v51
	v_cvt_f64_f32_e32 v[14:15], v23
	v_fmac_f32_e32 v57, v16, v38
	v_fma_f32 v38, v38, v17, -v39
	v_fma_f32 v44, v40, v19, -v41
	v_cvt_f64_f32_e32 v[16:17], v52
	v_cvt_f64_f32_e32 v[18:19], v24
	v_cvt_f64_f32_e32 v[20:21], v53
	v_cvt_f64_f32_e32 v[22:23], v25
	v_cvt_f64_f32_e32 v[24:25], v54
	v_cvt_f64_f32_e32 v[26:27], v26
	v_cvt_f64_f32_e32 v[28:29], v55
	v_cvt_f64_f32_e32 v[30:31], v30
	v_cvt_f64_f32_e32 v[32:33], v56
	v_cvt_f64_f32_e32 v[34:35], v34
	v_cvt_f64_f32_e32 v[36:37], v57
	v_cvt_f64_f32_e32 v[38:39], v38
	v_cvt_f64_f32_e32 v[40:41], v58
	v_cvt_f64_f32_e32 v[44:45], v44
	s_wait_alu 0xfffe
	v_mul_f64_e32 v[0:1], s[0:1], v[0:1]
	v_mov_b32_e32 v47, v49
	s_delay_alu instid0(VALU_DEP_1) | instskip(SKIP_3) | instid1(VALU_DEP_4)
	v_lshlrev_b64_e32 v[46:47], 3, v[46:47]
	v_mul_f64_e32 v[2:3], s[0:1], v[2:3]
	v_mul_f64_e32 v[4:5], s[0:1], v[4:5]
	;; [unrolled: 1-line block ×3, first 2 shown]
	v_add_co_u32 v42, vcc_lo, v42, v46
	v_mul_f64_e32 v[8:9], s[0:1], v[8:9]
	v_mul_f64_e32 v[10:11], s[0:1], v[10:11]
	s_wait_alu 0xfffd
	v_add_co_ci_u32_e32 v43, vcc_lo, v43, v47, vcc_lo
	v_mul_f64_e32 v[12:13], s[0:1], v[12:13]
	v_mul_f64_e32 v[14:15], s[0:1], v[14:15]
	v_add_co_u32 v46, vcc_lo, v42, s2
	v_mul_f64_e32 v[16:17], s[0:1], v[16:17]
	v_mul_f64_e32 v[18:19], s[0:1], v[18:19]
	;; [unrolled: 1-line block ×14, first 2 shown]
	s_wait_alu 0xfffd
	v_add_co_ci_u32_e32 v47, vcc_lo, s3, v43, vcc_lo
	v_add_co_u32 v48, vcc_lo, v46, s2
	v_cvt_f32_f64_e32 v0, v[0:1]
	s_wait_alu 0xfffd
	s_delay_alu instid0(VALU_DEP_3) | instskip(NEXT) | instid1(VALU_DEP_3)
	v_add_co_ci_u32_e32 v49, vcc_lo, s3, v47, vcc_lo
	v_add_co_u32 v50, vcc_lo, v48, s2
	v_cvt_f32_f64_e32 v1, v[2:3]
	s_wait_alu 0xfffd
	s_delay_alu instid0(VALU_DEP_3)
	v_add_co_ci_u32_e32 v51, vcc_lo, s3, v49, vcc_lo
	v_cvt_f32_f64_e32 v2, v[4:5]
	v_cvt_f32_f64_e32 v3, v[6:7]
	v_add_co_u32 v52, vcc_lo, v50, s2
	v_cvt_f32_f64_e32 v4, v[8:9]
	v_cvt_f32_f64_e32 v5, v[10:11]
	s_wait_alu 0xfffd
	v_add_co_ci_u32_e32 v53, vcc_lo, s3, v51, vcc_lo
	v_cvt_f32_f64_e32 v6, v[12:13]
	v_cvt_f32_f64_e32 v7, v[14:15]
	;; [unrolled: 1-line block ×16, first 2 shown]
	v_add_co_u32 v22, vcc_lo, v52, s2
	s_wait_alu 0xfffd
	v_add_co_ci_u32_e32 v23, vcc_lo, s3, v53, vcc_lo
	s_delay_alu instid0(VALU_DEP_2) | instskip(SKIP_1) | instid1(VALU_DEP_2)
	v_add_co_u32 v24, vcc_lo, v22, s2
	s_wait_alu 0xfffd
	v_add_co_ci_u32_e32 v25, vcc_lo, s3, v23, vcc_lo
	s_delay_alu instid0(VALU_DEP_2) | instskip(SKIP_1) | instid1(VALU_DEP_2)
	;; [unrolled: 4-line block ×5, first 2 shown]
	v_add_co_u32 v32, vcc_lo, v30, s2
	s_wait_alu 0xfffd
	v_add_co_ci_u32_e32 v33, vcc_lo, s3, v31, vcc_lo
	s_clause 0x4
	global_store_b64 v[42:43], v[0:1], off
	global_store_b64 v[46:47], v[2:3], off
	;; [unrolled: 1-line block ×11, first 2 shown]
.LBB0_31:
	s_nop 0
	s_sendmsg sendmsg(MSG_DEALLOC_VGPRS)
	s_endpgm
	.section	.rodata,"a",@progbits
	.p2align	6, 0x0
	.amdhsa_kernel bluestein_single_back_len1980_dim1_sp_op_CI_CI
		.amdhsa_group_segment_fixed_size 15840
		.amdhsa_private_segment_fixed_size 0
		.amdhsa_kernarg_size 104
		.amdhsa_user_sgpr_count 2
		.amdhsa_user_sgpr_dispatch_ptr 0
		.amdhsa_user_sgpr_queue_ptr 0
		.amdhsa_user_sgpr_kernarg_segment_ptr 1
		.amdhsa_user_sgpr_dispatch_id 0
		.amdhsa_user_sgpr_private_segment_size 0
		.amdhsa_wavefront_size32 1
		.amdhsa_uses_dynamic_stack 0
		.amdhsa_enable_private_segment 0
		.amdhsa_system_sgpr_workgroup_id_x 1
		.amdhsa_system_sgpr_workgroup_id_y 0
		.amdhsa_system_sgpr_workgroup_id_z 0
		.amdhsa_system_sgpr_workgroup_info 0
		.amdhsa_system_vgpr_workitem_id 0
		.amdhsa_next_free_vgpr 175
		.amdhsa_next_free_sgpr 14
		.amdhsa_reserve_vcc 1
		.amdhsa_float_round_mode_32 0
		.amdhsa_float_round_mode_16_64 0
		.amdhsa_float_denorm_mode_32 3
		.amdhsa_float_denorm_mode_16_64 3
		.amdhsa_fp16_overflow 0
		.amdhsa_workgroup_processor_mode 1
		.amdhsa_memory_ordered 1
		.amdhsa_forward_progress 0
		.amdhsa_round_robin_scheduling 0
		.amdhsa_exception_fp_ieee_invalid_op 0
		.amdhsa_exception_fp_denorm_src 0
		.amdhsa_exception_fp_ieee_div_zero 0
		.amdhsa_exception_fp_ieee_overflow 0
		.amdhsa_exception_fp_ieee_underflow 0
		.amdhsa_exception_fp_ieee_inexact 0
		.amdhsa_exception_int_div_zero 0
	.end_amdhsa_kernel
	.text
.Lfunc_end0:
	.size	bluestein_single_back_len1980_dim1_sp_op_CI_CI, .Lfunc_end0-bluestein_single_back_len1980_dim1_sp_op_CI_CI
                                        ; -- End function
	.section	.AMDGPU.csdata,"",@progbits
; Kernel info:
; codeLenInByte = 16008
; NumSgprs: 16
; NumVgprs: 175
; ScratchSize: 0
; MemoryBound: 0
; FloatMode: 240
; IeeeMode: 1
; LDSByteSize: 15840 bytes/workgroup (compile time only)
; SGPRBlocks: 1
; VGPRBlocks: 21
; NumSGPRsForWavesPerEU: 16
; NumVGPRsForWavesPerEU: 175
; Occupancy: 8
; WaveLimiterHint : 1
; COMPUTE_PGM_RSRC2:SCRATCH_EN: 0
; COMPUTE_PGM_RSRC2:USER_SGPR: 2
; COMPUTE_PGM_RSRC2:TRAP_HANDLER: 0
; COMPUTE_PGM_RSRC2:TGID_X_EN: 1
; COMPUTE_PGM_RSRC2:TGID_Y_EN: 0
; COMPUTE_PGM_RSRC2:TGID_Z_EN: 0
; COMPUTE_PGM_RSRC2:TIDIG_COMP_CNT: 0
	.text
	.p2alignl 7, 3214868480
	.fill 96, 4, 3214868480
	.type	__hip_cuid_d9426f4e779cc2a3,@object ; @__hip_cuid_d9426f4e779cc2a3
	.section	.bss,"aw",@nobits
	.globl	__hip_cuid_d9426f4e779cc2a3
__hip_cuid_d9426f4e779cc2a3:
	.byte	0                               ; 0x0
	.size	__hip_cuid_d9426f4e779cc2a3, 1

	.ident	"AMD clang version 19.0.0git (https://github.com/RadeonOpenCompute/llvm-project roc-6.4.0 25133 c7fe45cf4b819c5991fe208aaa96edf142730f1d)"
	.section	".note.GNU-stack","",@progbits
	.addrsig
	.addrsig_sym __hip_cuid_d9426f4e779cc2a3
	.amdgpu_metadata
---
amdhsa.kernels:
  - .args:
      - .actual_access:  read_only
        .address_space:  global
        .offset:         0
        .size:           8
        .value_kind:     global_buffer
      - .actual_access:  read_only
        .address_space:  global
        .offset:         8
        .size:           8
        .value_kind:     global_buffer
      - .actual_access:  read_only
        .address_space:  global
        .offset:         16
        .size:           8
        .value_kind:     global_buffer
      - .actual_access:  read_only
        .address_space:  global
        .offset:         24
        .size:           8
        .value_kind:     global_buffer
      - .actual_access:  read_only
        .address_space:  global
        .offset:         32
        .size:           8
        .value_kind:     global_buffer
      - .offset:         40
        .size:           8
        .value_kind:     by_value
      - .address_space:  global
        .offset:         48
        .size:           8
        .value_kind:     global_buffer
      - .address_space:  global
        .offset:         56
        .size:           8
        .value_kind:     global_buffer
      - .address_space:  global
        .offset:         64
        .size:           8
        .value_kind:     global_buffer
      - .address_space:  global
        .offset:         72
        .size:           8
        .value_kind:     global_buffer
      - .offset:         80
        .size:           4
        .value_kind:     by_value
      - .address_space:  global
        .offset:         88
        .size:           8
        .value_kind:     global_buffer
      - .address_space:  global
        .offset:         96
        .size:           8
        .value_kind:     global_buffer
    .group_segment_fixed_size: 15840
    .kernarg_segment_align: 8
    .kernarg_segment_size: 104
    .language:       OpenCL C
    .language_version:
      - 2
      - 0
    .max_flat_workgroup_size: 198
    .name:           bluestein_single_back_len1980_dim1_sp_op_CI_CI
    .private_segment_fixed_size: 0
    .sgpr_count:     16
    .sgpr_spill_count: 0
    .symbol:         bluestein_single_back_len1980_dim1_sp_op_CI_CI.kd
    .uniform_work_group_size: 1
    .uses_dynamic_stack: false
    .vgpr_count:     175
    .vgpr_spill_count: 0
    .wavefront_size: 32
    .workgroup_processor_mode: 1
amdhsa.target:   amdgcn-amd-amdhsa--gfx1201
amdhsa.version:
  - 1
  - 2
...

	.end_amdgpu_metadata
